;; amdgpu-corpus repo=ROCm/rocFFT kind=compiled arch=gfx1030 opt=O3
	.text
	.amdgcn_target "amdgcn-amd-amdhsa--gfx1030"
	.amdhsa_code_object_version 6
	.protected	bluestein_single_fwd_len204_dim1_sp_op_CI_CI ; -- Begin function bluestein_single_fwd_len204_dim1_sp_op_CI_CI
	.globl	bluestein_single_fwd_len204_dim1_sp_op_CI_CI
	.p2align	8
	.type	bluestein_single_fwd_len204_dim1_sp_op_CI_CI,@function
bluestein_single_fwd_len204_dim1_sp_op_CI_CI: ; @bluestein_single_fwd_len204_dim1_sp_op_CI_CI
; %bb.0:
	s_load_dwordx4 s[0:3], s[4:5], 0x28
	v_mul_u32_u24_e32 v1, 0xf10, v0
	v_lshrrev_b32_e32 v1, 16, v1
	v_mad_u64_u32 v[56:57], null, s6, 7, v[1:2]
	v_mov_b32_e32 v57, 0
	s_waitcnt lgkmcnt(0)
	v_cmp_gt_u64_e32 vcc_lo, s[0:1], v[56:57]
	s_and_saveexec_b32 s0, vcc_lo
	s_cbranch_execz .LBB0_15
; %bb.1:
	v_mul_hi_u32 v2, 0x24924925, v56
	v_mul_lo_u16 v1, v1, 17
	s_clause 0x1
	s_load_dwordx2 s[12:13], s[4:5], 0x0
	s_load_dwordx2 s[14:15], s[4:5], 0x38
	v_sub_nc_u16 v0, v0, v1
	v_sub_nc_u32_e32 v3, v56, v2
	v_and_b32_e32 v85, 0xffff, v0
	v_cmp_gt_u16_e32 vcc_lo, 12, v0
	v_lshrrev_b32_e32 v3, 1, v3
	v_lshlrev_b32_e32 v80, 3, v85
	v_or_b32_e32 v83, 48, v85
	v_add_nc_u32_e32 v2, v3, v2
	v_or_b32_e32 v82, 0x60, v85
	v_or_b32_e32 v81, 0x90, v85
	;; [unrolled: 1-line block ×3, first 2 shown]
	v_lshrrev_b32_e32 v2, 2, v2
	v_mul_lo_u32 v2, v2, 7
	v_sub_nc_u32_e32 v1, v56, v2
	v_mul_u32_u24_e32 v84, 0xcc, v1
	v_lshlrev_b32_e32 v86, 3, v84
	s_and_saveexec_b32 s1, vcc_lo
	s_cbranch_execz .LBB0_3
; %bb.2:
	s_load_dwordx2 s[6:7], s[4:5], 0x18
	v_lshl_add_u32 v77, v85, 3, v86
	v_add_nc_u32_e32 v78, v86, v80
	s_waitcnt lgkmcnt(0)
	s_load_dwordx4 s[8:11], s[6:7], 0x0
	s_clause 0xe
	global_load_dwordx2 v[0:1], v80, s[12:13]
	global_load_dwordx2 v[2:3], v80, s[12:13] offset:96
	global_load_dwordx2 v[4:5], v80, s[12:13] offset:192
	;; [unrolled: 1-line block ×14, first 2 shown]
	s_waitcnt lgkmcnt(0)
	v_mad_u64_u32 v[30:31], null, s10, v56, 0
	v_mad_u64_u32 v[32:33], null, s8, v85, 0
	;; [unrolled: 1-line block ×9, first 2 shown]
	v_mov_b32_e32 v31, v42
	v_mad_u64_u32 v[45:46], null, s9, v82, v[37:38]
	v_mov_b32_e32 v33, v43
	v_mad_u64_u32 v[46:47], null, s9, v81, v[39:40]
	v_lshlrev_b64 v[30:31], 3, v[30:31]
	v_mov_b32_e32 v35, v44
	s_mul_i32 s0, s9, 0x60
	s_mul_hi_u32 s6, s8, 0x60
	v_mad_u64_u32 v[47:48], null, s9, v79, v[41:42]
	v_lshlrev_b64 v[32:33], 3, v[32:33]
	s_add_i32 s6, s6, s0
	v_mov_b32_e32 v37, v45
	v_add_co_u32 v42, s0, s2, v30
	v_add_co_ci_u32_e64 v43, s0, s3, v31, s0
	v_lshlrev_b64 v[30:31], 3, v[34:35]
	v_mov_b32_e32 v39, v46
	v_add_co_u32 v32, s0, v42, v32
	v_lshlrev_b64 v[34:35], 3, v[36:37]
	v_mov_b32_e32 v41, v47
	v_add_co_ci_u32_e64 v33, s0, v43, v33, s0
	v_add_co_u32 v30, s0, v42, v30
	v_lshlrev_b64 v[36:37], 3, v[38:39]
	v_add_co_ci_u32_e64 v31, s0, v43, v31, s0
	v_lshlrev_b64 v[38:39], 3, v[40:41]
	v_add_co_u32 v34, s0, v42, v34
	v_add_co_ci_u32_e64 v35, s0, v43, v35, s0
	v_add_co_u32 v36, s0, v42, v36
	v_add_co_ci_u32_e64 v37, s0, v43, v37, s0
	v_add_co_u32 v38, s0, v42, v38
	s_mul_i32 s7, s8, 0x60
	v_add_co_ci_u32_e64 v39, s0, v43, v39, s0
	s_clause 0x1
	global_load_dwordx2 v[40:41], v[32:33], off
	global_load_dwordx2 v[30:31], v[30:31], off
	v_add_co_u32 v32, s0, v32, s7
	v_add_co_ci_u32_e64 v33, s0, s6, v33, s0
	s_mul_i32 s10, s9, 0xc0
	v_add_co_u32 v42, s0, v32, s7
	v_add_co_ci_u32_e64 v43, s0, s6, v33, s0
	s_mul_hi_u32 s16, s8, 0xc0
	v_add_co_u32 v44, s0, v42, s7
	v_add_co_ci_u32_e64 v45, s0, s6, v43, s0
	s_mulk_i32 s8, 0xc0
	s_add_i32 s16, s16, s10
	v_add_co_u32 v46, s0, v44, s8
	v_add_co_ci_u32_e64 v47, s0, s16, v45, s0
	s_clause 0x1
	global_load_dwordx2 v[34:35], v[34:35], off
	global_load_dwordx2 v[36:37], v[36:37], off
	v_add_co_u32 v48, s0, v46, s7
	v_add_co_ci_u32_e64 v49, s0, s6, v47, s0
	s_clause 0x2
	global_load_dwordx2 v[38:39], v[38:39], off
	global_load_dwordx2 v[42:43], v[42:43], off
	;; [unrolled: 1-line block ×3, first 2 shown]
	v_add_co_u32 v50, s0, v48, s7
	v_add_co_ci_u32_e64 v51, s0, s6, v49, s0
	global_load_dwordx2 v[32:33], v[32:33], off
	v_add_co_u32 v52, s0, v50, s8
	v_add_co_ci_u32_e64 v53, s0, s16, v51, s0
	global_load_dwordx2 v[46:47], v[46:47], off
	;; [unrolled: 3-line block ×6, first 2 shown]
	global_load_dwordx2 v[57:58], v[57:58], off
	v_add_co_u32 v63, s0, v61, s7
	v_add_co_ci_u32_e64 v64, s0, s6, v62, s0
	global_load_dwordx2 v[59:60], v[59:60], off
	global_load_dwordx2 v[61:62], v[61:62], off
	s_clause 0x1
	global_load_dwordx2 v[65:66], v80, s[12:13] offset:1344
	global_load_dwordx2 v[67:68], v80, s[12:13] offset:1440
	global_load_dwordx2 v[63:64], v[63:64], off
	s_waitcnt vmcnt(18)
	v_mul_f32_e32 v69, v41, v1
	v_mul_f32_e32 v70, v40, v1
	s_waitcnt vmcnt(17)
	v_mul_f32_e32 v71, v31, v9
	v_mul_f32_e32 v9, v30, v9
	v_fmac_f32_e32 v69, v40, v0
	v_fma_f32 v70, v41, v0, -v70
	v_fmac_f32_e32 v71, v30, v8
	v_fma_f32 v72, v31, v8, -v9
	ds_write_b64 v77, v[69:70]
	s_waitcnt vmcnt(16)
	v_mul_f32_e32 v73, v35, v17
	v_mul_f32_e32 v17, v34, v17
	s_waitcnt vmcnt(15)
	v_mul_f32_e32 v75, v37, v25
	v_mul_f32_e32 v25, v36, v25
	v_fmac_f32_e32 v73, v34, v16
	s_waitcnt vmcnt(14)
	v_mul_f32_e32 v1, v39, v29
	v_mul_f32_e32 v29, v38, v29
	v_fma_f32 v74, v35, v16, -v17
	v_fmac_f32_e32 v75, v36, v24
	v_fma_f32 v76, v37, v24, -v25
	v_fmac_f32_e32 v1, v38, v28
	s_waitcnt vmcnt(11)
	v_mul_f32_e32 v0, v32, v3
	v_mul_f32_e32 v8, v33, v3
	;; [unrolled: 1-line block ×4, first 2 shown]
	v_fma_f32 v9, v33, v2, -v0
	v_fmac_f32_e32 v8, v32, v2
	v_fmac_f32_e32 v3, v42, v4
	v_fma_f32 v4, v43, v4, -v5
	v_mul_f32_e32 v2, v45, v7
	v_mul_f32_e32 v0, v44, v7
	s_waitcnt vmcnt(10)
	v_mul_f32_e32 v5, v46, v11
	s_waitcnt vmcnt(9)
	v_mul_f32_e32 v7, v49, v13
	ds_write2_b64 v78, v[8:9], v[3:4] offset0:12 offset1:24
	v_fmac_f32_e32 v2, v44, v6
	v_mul_f32_e32 v4, v47, v11
	v_mul_f32_e32 v8, v48, v13
	v_fma_f32 v3, v45, v6, -v0
	v_fma_f32 v5, v47, v10, -v5
	v_fmac_f32_e32 v7, v48, v12
	v_fmac_f32_e32 v4, v46, v10
	v_fma_f32 v8, v49, v12, -v8
	ds_write2_b64 v78, v[2:3], v[71:72] offset0:36 offset1:48
	s_waitcnt vmcnt(8)
	v_mul_f32_e32 v0, v50, v15
	s_waitcnt vmcnt(7)
	v_mul_f32_e32 v2, v52, v19
	v_mul_f32_e32 v3, v51, v15
	ds_write2_b64 v78, v[4:5], v[7:8] offset0:60 offset1:72
	v_mul_f32_e32 v6, v53, v19
	v_fma_f32 v4, v51, v14, -v0
	v_fma_f32 v7, v53, v18, -v2
	s_waitcnt vmcnt(6)
	v_mul_f32_e32 v0, v54, v21
	s_waitcnt vmcnt(5)
	v_mul_f32_e32 v2, v57, v23
	v_mul_f32_e32 v8, v55, v21
	;; [unrolled: 1-line block ×3, first 2 shown]
	v_fmac_f32_e32 v3, v50, v14
	s_waitcnt vmcnt(4)
	v_mul_f32_e32 v12, v60, v27
	v_fma_f32 v9, v55, v20, -v0
	v_fma_f32 v11, v58, v22, -v2
	v_mul_f32_e32 v0, v59, v27
	s_waitcnt vmcnt(2)
	v_mul_f32_e32 v14, v62, v66
	v_mul_f32_e32 v2, v61, v66
	s_waitcnt vmcnt(0)
	v_mul_f32_e32 v16, v64, v68
	v_mul_f32_e32 v5, v63, v68
	v_fmac_f32_e32 v6, v52, v18
	v_fmac_f32_e32 v8, v54, v20
	;; [unrolled: 1-line block ×4, first 2 shown]
	v_fma_f32 v13, v60, v26, -v0
	v_fmac_f32_e32 v14, v61, v65
	v_fma_f32 v15, v62, v65, -v2
	v_fmac_f32_e32 v16, v63, v67
	v_fma_f32 v17, v64, v67, -v5
	v_fma_f32 v2, v39, v28, -v29
	ds_write2_b64 v78, v[3:4], v[73:74] offset0:84 offset1:96
	ds_write2_b64 v78, v[6:7], v[8:9] offset0:108 offset1:120
	;; [unrolled: 1-line block ×5, first 2 shown]
.LBB0_3:
	s_or_b32 exec_lo, exec_lo, s1
	s_clause 0x1
	s_load_dwordx2 s[0:1], s[4:5], 0x20
	s_load_dwordx2 s[2:3], s[4:5], 0x8
	v_mov_b32_e32 v8, 0
	v_mov_b32_e32 v9, 0
	s_waitcnt lgkmcnt(0)
	s_barrier
	buffer_gl0_inv
                                        ; implicit-def: $vgpr22
                                        ; implicit-def: $vgpr16
                                        ; implicit-def: $vgpr12
                                        ; implicit-def: $vgpr40
                                        ; implicit-def: $vgpr26
                                        ; implicit-def: $vgpr30
                                        ; implicit-def: $vgpr34
                                        ; implicit-def: $vgpr38
	s_and_saveexec_b32 s4, vcc_lo
	s_cbranch_execz .LBB0_5
; %bb.4:
	v_lshl_add_u32 v0, v84, 3, v80
	ds_read2_b64 v[8:11], v0 offset1:12
	ds_read2_b64 v[36:39], v0 offset0:24 offset1:36
	ds_read2_b64 v[32:35], v0 offset0:48 offset1:60
	;; [unrolled: 1-line block ×7, first 2 shown]
	ds_read_b64 v[40:41], v0 offset:1536
.LBB0_5:
	s_or_b32 exec_lo, exec_lo, s4
	s_waitcnt lgkmcnt(0)
	v_sub_f32_e32 v48, v11, v41
	v_add_f32_e32 v50, v40, v10
	v_sub_f32_e32 v49, v10, v40
	v_sub_f32_e32 v108, v37, v15
	v_add_f32_e32 v51, v41, v11
	v_mul_f32_e32 v64, 0xbeb8f4ab, v48
	v_add_f32_e32 v52, v14, v36
	v_sub_f32_e32 v114, v36, v14
	v_mul_f32_e32 v66, 0xbeb8f4ab, v49
	v_mul_f32_e32 v61, 0xbf2c7751, v108
	v_fmamk_f32 v0, v50, 0x3f6eb680, v64
	v_sub_f32_e32 v112, v39, v13
	v_add_f32_e32 v53, v15, v37
	v_mul_f32_e32 v62, 0xbf2c7751, v114
	v_fma_f32 v1, 0x3f6eb680, v51, -v66
	v_fmamk_f32 v2, v52, 0x3f3d2fb0, v61
	v_add_f32_e32 v0, v0, v8
	v_add_f32_e32 v54, v12, v38
	v_mul_f32_e32 v65, 0xbf65296c, v112
	v_sub_f32_e32 v121, v38, v12
	v_fma_f32 v3, 0x3f3d2fb0, v53, -v62
	v_add_f32_e32 v1, v1, v9
	v_add_f32_e32 v0, v2, v0
	;; [unrolled: 1-line block ×3, first 2 shown]
	v_sub_f32_e32 v120, v33, v19
	v_fmamk_f32 v2, v54, 0x3ee437d1, v65
	v_mul_f32_e32 v71, 0xbf65296c, v121
	v_sub_f32_e32 v122, v32, v18
	v_add_f32_e32 v1, v3, v1
	v_add_f32_e32 v59, v18, v32
	v_mul_f32_e32 v70, 0xbf7ee86f, v120
	v_add_f32_e32 v0, v2, v0
	v_fma_f32 v2, 0x3ee437d1, v55, -v71
	v_add_f32_e32 v60, v19, v33
	v_mul_f32_e32 v72, 0xbf7ee86f, v122
	v_sub_f32_e32 v123, v35, v17
	v_fmamk_f32 v3, v59, 0x3dbcf732, v70
	v_add_f32_e32 v1, v2, v1
	v_add_f32_e32 v63, v16, v34
	v_fma_f32 v2, 0x3dbcf732, v60, -v72
	v_mul_f32_e32 v74, 0xbf763a35, v123
	v_sub_f32_e32 v125, v34, v16
	v_sub_f32_e32 v124, v29, v23
	v_add_f32_e32 v0, v3, v0
	v_add_f32_e32 v1, v2, v1
	;; [unrolled: 1-line block ×3, first 2 shown]
	v_fmamk_f32 v2, v63, 0xbe8c1d8e, v74
	v_mul_f32_e32 v78, 0xbf763a35, v125
	v_add_f32_e32 v67, v22, v28
	v_mul_f32_e32 v77, 0xbf4c4adb, v124
	v_sub_f32_e32 v129, v28, v22
	v_sub_f32_e32 v128, v31, v21
	v_add_f32_e32 v0, v2, v0
	v_fma_f32 v2, 0xbe8c1d8e, v68, -v78
	v_add_f32_e32 v69, v23, v29
	v_fmamk_f32 v3, v67, 0xbf1a4643, v77
	v_mul_f32_e32 v89, 0xbf4c4adb, v129
	v_add_f32_e32 v73, v20, v30
	v_mul_f32_e32 v88, 0xbf06c442, v128
	v_sub_f32_e32 v134, v30, v20
	v_sub_f32_e32 v137, v25, v27
	v_add_f32_e32 v1, v2, v1
	v_add_f32_e32 v0, v3, v0
	v_fma_f32 v2, 0xbf1a4643, v69, -v89
	v_fmamk_f32 v3, v73, 0xbf59a7d5, v88
	v_add_f32_e32 v76, v21, v31
	v_mul_f32_e32 v91, 0xbf06c442, v134
	v_add_f32_e32 v75, v26, v24
	v_mul_f32_e32 v90, 0xbe3c28d5, v137
	v_mul_f32_e32 v93, 0xbf2c7751, v48
	v_add_f32_e32 v1, v2, v1
	v_add_f32_e32 v0, v3, v0
	v_fma_f32 v2, 0xbf59a7d5, v76, -v91
	v_fmamk_f32 v3, v75, 0xbf7ba420, v90
	v_fmamk_f32 v4, v50, 0x3f3d2fb0, v93
	v_mul_f32_e32 v94, 0xbf7ee86f, v108
	v_mul_f32_e32 v102, 0xbf2c7751, v49
	v_add_f32_e32 v1, v2, v1
	v_add_f32_e32 v57, v3, v0
	;; [unrolled: 1-line block ×3, first 2 shown]
	v_fmamk_f32 v2, v52, 0x3dbcf732, v94
	v_fma_f32 v3, 0x3f3d2fb0, v51, -v102
	v_mul_f32_e32 v104, 0xbf7ee86f, v114
	v_mul_f32_e32 v95, 0xbf4c4adb, v112
	;; [unrolled: 1-line block ×3, first 2 shown]
	v_add_f32_e32 v0, v2, v0
	v_add_f32_e32 v2, v3, v9
	v_fma_f32 v3, 0x3dbcf732, v53, -v104
	v_sub_f32_e32 v144, v24, v26
	v_fmamk_f32 v4, v54, 0xbf1a4643, v95
	v_mul_f32_e32 v96, 0xbe3c28d5, v120
	v_mul_f32_e32 v101, 0xbe3c28d5, v122
	v_add_f32_e32 v2, v3, v2
	v_fma_f32 v3, 0xbf1a4643, v55, -v100
	v_add_f32_e32 v87, v27, v25
	v_add_f32_e32 v0, v4, v0
	v_fmamk_f32 v4, v59, 0xbf7ba420, v96
	v_mul_f32_e32 v92, 0xbe3c28d5, v144
	v_mul_f32_e32 v98, 0x3f06c442, v123
	v_add_f32_e32 v2, v3, v2
	v_fma_f32 v3, 0xbf7ba420, v60, -v101
	v_mul_f32_e32 v103, 0x3f06c442, v125
	v_add_f32_e32 v0, v4, v0
	v_fmamk_f32 v4, v63, 0xbf59a7d5, v98
	v_mul_f32_e32 v99, 0x3f763a35, v124
	v_fma_f32 v5, 0xbf7ba420, v87, -v92
	v_add_f32_e32 v2, v3, v2
	v_fma_f32 v3, 0xbf59a7d5, v68, -v103
	v_mul_f32_e32 v105, 0x3f763a35, v129
	v_mul_f32_e32 v119, 0xbf65296c, v48
	v_add_f32_e32 v0, v4, v0
	v_fmamk_f32 v4, v67, 0xbe8c1d8e, v99
	v_add_f32_e32 v58, v5, v1
	v_add_f32_e32 v1, v3, v2
	v_fma_f32 v2, 0xbe8c1d8e, v69, -v105
	v_mul_f32_e32 v106, 0x3f65296c, v128
	v_fmamk_f32 v3, v50, 0x3ee437d1, v119
	v_mul_f32_e32 v113, 0xbf4c4adb, v108
	v_add_f32_e32 v0, v4, v0
	v_add_f32_e32 v1, v2, v1
	v_fmamk_f32 v2, v73, 0x3ee437d1, v106
	v_add_f32_e32 v3, v3, v8
	v_fmamk_f32 v5, v52, 0xbf1a4643, v113
	v_mul_f32_e32 v110, 0x3e3c28d5, v112
	v_mul_f32_e32 v111, 0x3f763a35, v120
	v_add_f32_e32 v0, v2, v0
	v_mul_f32_e32 v132, 0xbf65296c, v49
	v_add_f32_e32 v2, v5, v3
	v_fmamk_f32 v3, v54, 0xbf7ba420, v110
	v_mul_f32_e32 v115, 0x3f2c7751, v123
	v_mul_f32_e32 v107, 0x3f65296c, v134
	v_fma_f32 v6, 0x3ee437d1, v51, -v132
	v_mul_f32_e32 v133, 0xbf4c4adb, v114
	v_add_f32_e32 v2, v3, v2
	v_fmamk_f32 v3, v59, 0xbe8c1d8e, v111
	v_mul_f32_e32 v116, 0xbeb8f4ab, v124
	v_fma_f32 v4, 0x3ee437d1, v76, -v107
	v_mul_f32_e32 v97, 0x3eb8f4ab, v137
	v_add_f32_e32 v6, v6, v9
	v_add_f32_e32 v2, v3, v2
	v_fmamk_f32 v3, v63, 0x3f3d2fb0, v115
	v_fma_f32 v7, 0xbf1a4643, v53, -v133
	v_mul_f32_e32 v131, 0x3e3c28d5, v121
	v_mul_f32_e32 v117, 0xbf7ee86f, v128
	v_add_f32_e32 v1, v4, v1
	v_add_f32_e32 v2, v3, v2
	v_fmamk_f32 v3, v67, 0x3f6eb680, v116
	v_fmamk_f32 v4, v75, 0x3f6eb680, v97
	v_add_f32_e32 v6, v7, v6
	v_fma_f32 v7, 0xbf7ba420, v55, -v131
	v_mul_f32_e32 v127, 0x3f763a35, v122
	v_add_f32_e32 v3, v3, v2
	v_fmamk_f32 v42, v73, 0x3dbcf732, v117
	v_mul_f32_e32 v118, 0xbf06c442, v137
	v_mul_f32_e32 v109, 0x3eb8f4ab, v144
	v_add_f32_e32 v6, v7, v6
	v_fma_f32 v7, 0xbe8c1d8e, v60, -v127
	v_mul_f32_e32 v126, 0x3f2c7751, v125
	v_add_f32_e32 v2, v4, v0
	v_add_f32_e32 v0, v42, v3
	v_fmamk_f32 v4, v75, 0xbf59a7d5, v118
	v_mul_f32_e32 v145, 0xbf7ee86f, v48
	v_fma_f32 v5, 0x3f6eb680, v87, -v109
	v_add_f32_e32 v6, v7, v6
	v_fma_f32 v7, 0x3f3d2fb0, v68, -v126
	v_add_f32_e32 v0, v4, v0
	v_fmamk_f32 v4, v50, 0x3dbcf732, v145
	v_mul_f32_e32 v146, 0xbe3c28d5, v108
	v_add_f32_e32 v3, v5, v1
	v_add_f32_e32 v1, v7, v6
	v_mul_f32_e32 v143, 0x3f763a35, v112
	v_add_f32_e32 v4, v4, v8
	v_fmamk_f32 v6, v52, 0xbf7ba420, v146
	v_mul_f32_e32 v142, 0x3eb8f4ab, v120
	v_mul_f32_e32 v139, 0xbf65296c, v123
	v_mul_f32_e32 v140, 0xbf06c442, v124
	v_mul_f32_e32 v141, 0x3f4c4adb, v128
	v_add_f32_e32 v4, v6, v4
	v_fmamk_f32 v6, v54, 0xbe8c1d8e, v143
	v_mul_f32_e32 v152, 0xbf7ee86f, v49
	v_mul_f32_e32 v160, 0xbf763a35, v48
	;; [unrolled: 1-line block ×4, first 2 shown]
	v_add_f32_e32 v4, v6, v4
	v_fmamk_f32 v6, v59, 0x3f6eb680, v142
	v_fma_f32 v5, 0x3dbcf732, v51, -v152
	v_mul_f32_e32 v163, 0x3f06c442, v108
	v_fma_f32 v43, 0xbe8c1d8e, v51, -v170
	v_mul_f32_e32 v169, 0x3f06c442, v114
	v_add_f32_e32 v4, v6, v4
	v_fmamk_f32 v6, v63, 0x3ee437d1, v139
	v_add_f32_e32 v5, v5, v9
	v_fma_f32 v7, 0xbf7ba420, v53, -v154
	v_mul_f32_e32 v149, 0x3f763a35, v121
	v_fmamk_f32 v44, v52, 0xbf59a7d5, v163
	v_add_f32_e32 v4, v6, v4
	v_fmamk_f32 v6, v67, 0xbf59a7d5, v140
	v_mul_f32_e32 v162, 0x3f2c7751, v112
	v_add_f32_e32 v43, v43, v9
	v_fma_f32 v45, 0xbf59a7d5, v53, -v169
	v_mul_f32_e32 v168, 0x3f2c7751, v121
	v_add_f32_e32 v4, v6, v4
	v_fmamk_f32 v6, v73, 0xbf1a4643, v141
	v_add_f32_e32 v5, v7, v5
	v_fma_f32 v7, 0xbe8c1d8e, v55, -v149
	v_mul_f32_e32 v150, 0x3eb8f4ab, v122
	v_mul_f32_e32 v161, 0xbf65296c, v120
	v_add_f32_e32 v4, v6, v4
	v_fmamk_f32 v6, v50, 0xbe8c1d8e, v160
	v_add_f32_e32 v43, v45, v43
	v_fma_f32 v45, 0x3f3d2fb0, v55, -v168
	v_mul_f32_e32 v167, 0xbf65296c, v122
	v_add_f32_e32 v5, v7, v5
	v_add_f32_e32 v6, v6, v8
	v_fma_f32 v7, 0x3f6eb680, v60, -v150
	v_mul_f32_e32 v151, 0xbf65296c, v125
	v_mul_f32_e32 v159, 0xbe3c28d5, v123
	v_add_f32_e32 v43, v45, v43
	v_add_f32_e32 v6, v44, v6
	v_fmamk_f32 v44, v54, 0x3f3d2fb0, v162
	v_fma_f32 v45, 0x3ee437d1, v60, -v167
	v_mul_f32_e32 v166, 0xbe3c28d5, v125
	v_mul_f32_e32 v130, 0xbeb8f4ab, v129
	v_add_f32_e32 v5, v7, v5
	v_add_f32_e32 v6, v44, v6
	v_fmamk_f32 v44, v59, 0x3ee437d1, v161
	;; [unrolled: 6-line block ×3, first 2 shown]
	v_fma_f32 v45, 0xbf7ba420, v68, -v166
	v_mul_f32_e32 v165, 0x3f7ee86f, v129
	v_fma_f32 v42, 0x3f6eb680, v69, -v130
	v_mul_f32_e32 v136, 0xbf7ee86f, v134
	v_add_f32_e32 v5, v7, v5
	v_fma_f32 v7, 0xbf59a7d5, v69, -v153
	v_mul_f32_e32 v148, 0x3f4c4adb, v134
	v_add_f32_e32 v6, v44, v6
	v_fmamk_f32 v44, v67, 0x3dbcf732, v157
	v_mul_f32_e32 v156, 0xbeb8f4ab, v128
	v_add_f32_e32 v43, v45, v43
	v_fma_f32 v45, 0x3dbcf732, v69, -v165
	v_mul_f32_e32 v164, 0xbeb8f4ab, v134
	v_add_f32_e32 v1, v42, v1
	v_fma_f32 v42, 0x3dbcf732, v76, -v136
	;; [unrolled: 3-line block ×3, first 2 shown]
	v_mul_f32_e32 v138, 0x3f2c7751, v137
	v_mul_f32_e32 v147, 0x3f2c7751, v144
	v_add_f32_e32 v6, v44, v6
	v_fmamk_f32 v44, v73, 0x3f6eb680, v156
	v_mul_f32_e32 v155, 0xbf4c4adb, v137
	v_add_f32_e32 v43, v45, v43
	v_fma_f32 v45, 0x3f6eb680, v76, -v164
	v_mul_f32_e32 v158, 0xbf4c4adb, v144
	v_add_f32_e32 v1, v42, v1
	v_fma_f32 v42, 0xbf59a7d5, v87, -v135
	v_add_f32_e32 v5, v7, v5
	v_fmamk_f32 v7, v75, 0x3f3d2fb0, v138
	v_fma_f32 v46, 0x3f3d2fb0, v87, -v147
	v_add_f32_e32 v44, v44, v6
	v_fmamk_f32 v47, v75, 0xbf1a4643, v155
	v_add_f32_e32 v43, v45, v43
	v_fma_f32 v45, 0xbf1a4643, v87, -v158
	v_add_f32_e32 v1, v42, v1
	v_add_f32_e32 v6, v7, v4
	;; [unrolled: 1-line block ×5, first 2 shown]
	s_barrier
	buffer_gl0_inv
	s_and_saveexec_b32 s4, vcc_lo
	s_cbranch_execz .LBB0_7
; %bb.6:
	v_mul_f32_e32 v44, 0xbf59a7d5, v51
	v_mul_f32_e32 v46, 0xbf06c442, v48
	;; [unrolled: 1-line block ×5, first 2 shown]
	v_fmamk_f32 v42, v49, 0x3f06c442, v44
	v_fmamk_f32 v43, v50, 0xbf59a7d5, v46
	v_mul_f32_e32 v175, 0xbf7ee86f, v112
	v_fmamk_f32 v45, v114, 0xbf65296c, v171
	v_fmamk_f32 v47, v52, 0x3ee437d1, v174
	v_add_f32_e32 v42, v42, v9
	v_add_f32_e32 v43, v43, v8
	v_mul_f32_e32 v173, 0xbf1a4643, v60
	v_mul_f32_e32 v176, 0x3f4c4adb, v120
	v_fmamk_f32 v177, v121, 0x3f7ee86f, v172
	v_add_f32_e32 v42, v45, v42
	v_fmamk_f32 v45, v54, 0x3dbcf732, v175
	v_add_f32_e32 v43, v47, v43
	v_fmamk_f32 v47, v122, 0xbf4c4adb, v173
	v_mul_f32_e32 v179, 0xbeb8f4ab, v123
	v_add_f32_e32 v42, v177, v42
	v_fmamk_f32 v177, v59, 0xbf1a4643, v176
	v_add_f32_e32 v43, v45, v43
	v_mul_f32_e32 v178, 0x3f6eb680, v68
	v_mul_f32_e32 v183, 0xbf7ba420, v51
	v_add_f32_e32 v42, v47, v42
	v_fmamk_f32 v47, v63, 0x3f6eb680, v179
	v_add_f32_e32 v43, v177, v43
	v_mul_f32_e32 v180, 0xbf7ba420, v69
	v_fmamk_f32 v45, v125, 0x3eb8f4ab, v178
	v_fmamk_f32 v184, v49, 0x3e3c28d5, v183
	v_mul_f32_e32 v177, 0xbe3c28d5, v124
	v_add_f32_e32 v43, v47, v43
	v_mul_f32_e32 v47, 0x3f6eb680, v53
	v_mul_f32_e32 v181, 0x3f3d2fb0, v76
	v_fmamk_f32 v182, v129, 0x3e3c28d5, v180
	v_add_f32_e32 v42, v45, v42
	v_add_f32_e32 v184, v184, v9
	v_fmamk_f32 v188, v114, 0xbeb8f4ab, v47
	v_mul_f32_e32 v189, 0xbf59a7d5, v55
	v_fmamk_f32 v45, v67, 0xbf7ba420, v177
	v_mul_f32_e32 v185, 0x3f2c7751, v128
	v_mul_f32_e32 v186, 0xbe8c1d8e, v87
	v_fmamk_f32 v187, v134, 0xbf2c7751, v181
	v_add_f32_e32 v42, v182, v42
	v_add_f32_e32 v182, v188, v184
	v_fmamk_f32 v184, v121, 0x3f06c442, v189
	v_mul_f32_e32 v188, 0x3f3d2fb0, v60
	v_add_f32_e32 v43, v45, v43
	v_fmamk_f32 v45, v73, 0x3f3d2fb0, v185
	v_add_f32_e32 v42, v187, v42
	v_fmamk_f32 v187, v144, 0x3f763a35, v186
	;; [unrolled: 2-line block ×3, first 2 shown]
	v_mul_f32_e32 v191, 0xbf1a4643, v68
	v_mul_f32_e32 v193, 0xbe3c28d5, v48
	;; [unrolled: 1-line block ×3, first 2 shown]
	v_add_f32_e32 v45, v45, v43
	v_add_f32_e32 v182, v184, v182
	v_fmamk_f32 v184, v125, 0x3f4c4adb, v191
	v_mul_f32_e32 v194, 0x3ee437d1, v69
	v_add_f32_e32 v43, v187, v42
	v_fmamk_f32 v42, v50, 0xbf7ba420, v193
	v_mul_f32_e32 v187, 0x3eb8f4ab, v108
	v_fmamk_f32 v192, v75, 0xbe8c1d8e, v190
	v_add_f32_e32 v182, v184, v182
	v_fmamk_f32 v184, v129, 0xbf65296c, v194
	v_mul_f32_e32 v195, 0xbe8c1d8e, v76
	v_add_f32_e32 v196, v42, v8
	v_fmamk_f32 v197, v52, 0x3f6eb680, v187
	v_mul_f32_e32 v198, 0xbf06c442, v112
	v_add_f32_e32 v42, v192, v45
	v_add_f32_e32 v45, v184, v182
	v_fmamk_f32 v182, v134, 0x3f763a35, v195
	v_add_f32_e32 v184, v197, v196
	v_fmamk_f32 v192, v54, 0xbf59a7d5, v198
	v_mul_f32_e32 v196, 0x3f2c7751, v120
	v_fmac_f32_e32 v183, 0xbe3c28d5, v49
	v_add_f32_e32 v45, v182, v45
	v_fma_f32 v182, 0xbf7ba420, v50, -v193
	v_add_f32_e32 v184, v192, v184
	v_fmamk_f32 v192, v59, 0x3f3d2fb0, v196
	v_add_f32_e32 v183, v183, v9
	v_fmac_f32_e32 v47, 0x3eb8f4ab, v114
	v_add_f32_e32 v182, v182, v8
	v_fma_f32 v187, 0x3f6eb680, v52, -v187
	v_add_f32_e32 v184, v192, v184
	v_mul_f32_e32 v192, 0xbf4c4adb, v123
	v_add_f32_e32 v47, v47, v183
	v_fmac_f32_e32 v189, 0xbf06c442, v121
	v_add_f32_e32 v182, v187, v182
	v_fma_f32 v183, 0xbf59a7d5, v54, -v198
	v_fmamk_f32 v187, v63, 0xbf1a4643, v192
	v_mul_f32_e32 v193, 0x3f65296c, v124
	v_add_f32_e32 v47, v189, v47
	v_fmac_f32_e32 v188, 0x3f2c7751, v122
	v_add_f32_e32 v182, v183, v182
	v_fma_f32 v183, 0x3f3d2fb0, v59, -v196
	v_add_f32_e32 v184, v187, v184
	v_fmamk_f32 v187, v67, 0x3ee437d1, v193
	v_mul_f32_e32 v189, 0xbf763a35, v128
	v_add_f32_e32 v47, v188, v47
	v_add_f32_e32 v182, v183, v182
	v_fmac_f32_e32 v191, 0xbf4c4adb, v125
	v_fma_f32 v183, 0xbf1a4643, v63, -v192
	v_add_f32_e32 v184, v187, v184
	v_fmamk_f32 v187, v73, 0xbe8c1d8e, v189
	v_mul_f32_e32 v188, 0x3dbcf732, v87
	v_add_f32_e32 v47, v191, v47
	v_add_f32_e32 v182, v183, v182
	v_fma_f32 v183, 0x3ee437d1, v67, -v193
	v_add_f32_e32 v184, v187, v184
	v_fmamk_f32 v187, v144, 0xbf7ee86f, v188
	v_mul_f32_e32 v191, 0x3f7ee86f, v137
	v_fmac_f32_e32 v44, 0xbf06c442, v49
	v_add_f32_e32 v182, v183, v182
	v_fma_f32 v183, 0xbe8c1d8e, v73, -v189
	v_add_f32_e32 v45, v187, v45
	v_fmamk_f32 v187, v75, 0x3dbcf732, v191
	v_add_f32_e32 v189, v44, v9
	v_fmac_f32_e32 v171, 0x3f65296c, v114
	v_add_f32_e32 v182, v183, v182
	v_fma_f32 v183, 0x3dbcf732, v75, -v191
	v_add_f32_e32 v44, v187, v184
	v_fma_f32 v184, 0xbf59a7d5, v50, -v46
	v_add_f32_e32 v171, v171, v189
	v_fmac_f32_e32 v172, 0xbf7ee86f, v121
	v_add_f32_e32 v46, v183, v182
	v_fma_f32 v174, 0x3ee437d1, v52, -v174
	v_add_f32_e32 v183, v184, v8
	v_fmac_f32_e32 v173, 0x3f4c4adb, v122
	v_add_f32_e32 v171, v172, v171
	v_fma_f32 v175, 0x3dbcf732, v54, -v175
	v_fmac_f32_e32 v178, 0xbeb8f4ab, v125
	v_add_f32_e32 v174, v174, v183
	v_fmac_f32_e32 v180, 0xbe3c28d5, v129
	v_add_f32_e32 v171, v173, v171
	v_fmac_f32_e32 v181, 0x3f2c7751, v134
	v_fmac_f32_e32 v186, 0xbf763a35, v144
	v_add_f32_e32 v174, v175, v174
	v_fma_f32 v175, 0xbf1a4643, v59, -v176
	v_add_f32_e32 v171, v178, v171
	v_mul_f32_e32 v114, 0x3f763a35, v114
	v_mul_f32_e32 v121, 0xbeb8f4ab, v121
	;; [unrolled: 1-line block ×3, first 2 shown]
	v_add_f32_e32 v174, v175, v174
	v_fma_f32 v175, 0x3f6eb680, v63, -v179
	v_add_f32_e32 v180, v180, v171
	v_mul_f32_e32 v171, 0xbf4c4adb, v49
	v_fma_f32 v49, 0xbf7ba420, v67, -v177
	v_fmac_f32_e32 v194, 0x3f65296c, v129
	v_add_f32_e32 v174, v175, v174
	v_add_f32_e32 v177, v181, v180
	v_fmamk_f32 v180, v51, 0xbf1a4643, v171
	v_fma_f32 v181, 0x3f3d2fb0, v73, -v185
	v_mul_f32_e32 v185, 0xbf4c4adb, v48
	v_add_f32_e32 v174, v49, v174
	v_add_f32_e32 v49, v186, v177
	;; [unrolled: 1-line block ×3, first 2 shown]
	v_fmamk_f32 v180, v53, 0xbe8c1d8e, v114
	v_mul_f32_e32 v186, 0xbeb8f4ab, v112
	v_add_f32_e32 v174, v181, v174
	v_fma_f32 v181, 0xbe8c1d8e, v75, -v190
	v_mul_f32_e32 v175, 0xbe8c1d8e, v51
	v_add_f32_e32 v177, v180, v177
	v_fmamk_f32 v180, v55, 0x3f6eb680, v121
	v_mul_f32_e32 v112, 0xbf2c7751, v129
	v_add_f32_e32 v48, v181, v174
	v_fma_f32 v174, 0xbf1a4643, v50, -v185
	v_mul_f32_e32 v181, 0x3f763a35, v108
	v_add_f32_e32 v177, v180, v177
	v_fmamk_f32 v180, v60, 0xbf59a7d5, v122
	v_mul_f32_e32 v108, 0x3f7ee86f, v125
	v_add_f32_e32 v125, v174, v8
	v_fma_f32 v174, 0xbe8c1d8e, v52, -v181
	v_fma_f32 v129, 0x3f6eb680, v54, -v186
	v_add_f32_e32 v177, v180, v177
	v_fmamk_f32 v180, v68, 0x3dbcf732, v108
	v_fmac_f32_e32 v195, 0xbf763a35, v134
	v_add_f32_e32 v125, v174, v125
	v_mul_f32_e32 v174, 0xbf06c442, v120
	v_mul_f32_e32 v134, 0xbe3c28d5, v134
	v_add_f32_e32 v120, v180, v177
	v_mul_f32_e32 v180, 0x3f7ee86f, v123
	v_add_f32_e32 v125, v129, v125
	v_fma_f32 v129, 0xbf59a7d5, v59, -v174
	v_add_f32_e32 v123, v170, v175
	v_mul_f32_e32 v170, 0xbf59a7d5, v53
	v_fmamk_f32 v177, v69, 0x3f3d2fb0, v112
	v_fmac_f32_e32 v188, 0x3f7ee86f, v144
	v_add_f32_e32 v125, v129, v125
	v_fma_f32 v129, 0x3dbcf732, v63, -v180
	v_add_f32_e32 v123, v123, v9
	v_add_f32_e32 v169, v169, v170
	v_mul_f32_e32 v170, 0xbf2c7751, v124
	v_mul_f32_e32 v124, 0x3f3d2fb0, v55
	v_add_f32_e32 v125, v129, v125
	v_add_f32_e32 v120, v177, v120
	;; [unrolled: 1-line block ×3, first 2 shown]
	v_fma_f32 v129, 0x3f3d2fb0, v67, -v170
	v_add_f32_e32 v124, v168, v124
	v_mul_f32_e32 v168, 0x3ee437d1, v60
	v_mul_f32_e32 v169, 0xbe3c28d5, v128
	v_fmamk_f32 v128, v76, 0xbf7ba420, v134
	v_add_f32_e32 v125, v129, v125
	v_mul_f32_e32 v144, 0x3f65296c, v144
	v_add_f32_e32 v123, v124, v123
	v_add_f32_e32 v129, v167, v168
	v_mul_f32_e32 v167, 0xbf7ba420, v68
	v_fma_f32 v124, 0xbf7ba420, v73, -v169
	v_add_f32_e32 v120, v128, v120
	v_fmamk_f32 v128, v87, 0x3ee437d1, v144
	v_add_f32_e32 v129, v129, v123
	v_add_f32_e32 v166, v166, v167
	v_mul_f32_e32 v167, 0x3dbcf732, v69
	v_mul_f32_e32 v187, 0xbe8c1d8e, v50
	v_add_f32_e32 v125, v124, v125
	v_add_f32_e32 v124, v128, v120
	;; [unrolled: 1-line block ×4, first 2 shown]
	v_mul_f32_e32 v166, 0x3f6eb680, v76
	v_sub_f32_e32 v160, v187, v160
	v_mul_f32_e32 v167, 0xbf59a7d5, v52
	v_mul_f32_e32 v179, 0x3dbcf732, v51
	v_add_f32_e32 v128, v129, v128
	v_add_f32_e32 v164, v164, v166
	;; [unrolled: 1-line block ×3, first 2 shown]
	v_sub_f32_e32 v163, v167, v163
	v_mul_f32_e32 v129, 0xbf7ba420, v53
	v_add_f32_e32 v152, v152, v179
	v_add_f32_e32 v128, v164, v128
	v_mul_f32_e32 v164, 0x3f3d2fb0, v54
	v_add_f32_e32 v160, v163, v160
	v_add_f32_e32 v129, v154, v129
	;; [unrolled: 1-line block ×3, first 2 shown]
	v_mul_f32_e32 v137, 0x3f65296c, v137
	v_sub_f32_e32 v162, v164, v162
	v_mul_f32_e32 v164, 0x3ee437d1, v59
	v_mul_f32_e32 v173, 0x3ee437d1, v50
	v_add_f32_e32 v129, v129, v152
	v_mul_f32_e32 v152, 0xbf7ba420, v63
	v_add_f32_e32 v160, v162, v160
	v_mul_f32_e32 v162, 0xbe8c1d8e, v55
	v_sub_f32_e32 v161, v164, v161
	v_mul_f32_e32 v178, 0x3dbcf732, v50
	v_sub_f32_e32 v152, v152, v159
	v_fma_f32 v168, 0x3ee437d1, v75, -v137
	v_add_f32_e32 v149, v149, v162
	v_add_f32_e32 v160, v161, v160
	v_mul_f32_e32 v161, 0x3f6eb680, v60
	v_mul_f32_e32 v183, 0x3f3d2fb0, v51
	;; [unrolled: 1-line block ×3, first 2 shown]
	v_add_f32_e32 v129, v149, v129
	v_mul_f32_e32 v149, 0x3dbcf732, v67
	v_add_f32_e32 v150, v150, v161
	v_add_f32_e32 v152, v152, v160
	v_mul_f32_e32 v160, 0x3ee437d1, v68
	v_add_f32_e32 v123, v168, v125
	v_sub_f32_e32 v149, v149, v157
	v_add_f32_e32 v129, v150, v129
	v_mul_f32_e32 v150, 0x3f6eb680, v73
	v_add_f32_e32 v151, v151, v160
	v_mul_f32_e32 v125, 0xbf1a4643, v52
	;; [unrolled: 2-line block ×3, first 2 shown]
	v_sub_f32_e32 v150, v150, v156
	v_mul_f32_e32 v165, 0xbf7ba420, v52
	v_add_f32_e32 v129, v151, v129
	v_sub_f32_e32 v145, v178, v145
	v_add_f32_e32 v152, v153, v152
	v_add_f32_e32 v149, v150, v149
	v_mul_f32_e32 v150, 0xbf1a4643, v76
	v_sub_f32_e32 v119, v173, v119
	v_mul_f32_e32 v172, 0x3f3d2fb0, v50
	v_mul_f32_e32 v189, 0x3dbcf732, v53
	;; [unrolled: 1-line block ×6, first 2 shown]
	v_add_f32_e32 v129, v152, v129
	v_add_f32_e32 v148, v148, v150
	v_sub_f32_e32 v146, v165, v146
	v_add_f32_e32 v145, v145, v8
	v_add_f32_e32 v132, v132, v176
	;; [unrolled: 1-line block ×4, first 2 shown]
	v_sub_f32_e32 v113, v125, v113
	v_mul_f32_e32 v177, 0x3dbcf732, v52
	v_mul_f32_e32 v168, 0xbf1a4643, v55
	;; [unrolled: 1-line block ×4, first 2 shown]
	v_add_f32_e32 v156, v158, v156
	v_mul_f32_e32 v158, 0x3f6eb680, v59
	v_mul_f32_e32 v178, 0xbf1a4643, v75
	v_add_f32_e32 v148, v148, v129
	v_add_f32_e32 v129, v146, v145
	v_sub_f32_e32 v143, v162, v143
	v_add_f32_e32 v120, v133, v120
	v_add_f32_e32 v132, v132, v9
	;; [unrolled: 1-line block ×4, first 2 shown]
	v_sub_f32_e32 v93, v172, v93
	v_add_f32_e32 v113, v113, v119
	v_sub_f32_e32 v110, v154, v110
	v_mul_f32_e32 v163, 0xbf1a4643, v54
	v_mul_f32_e32 v160, 0xbf7ba420, v60
	v_sub_f32_e32 v155, v178, v155
	v_mul_f32_e32 v179, 0x3f3d2fb0, v63
	v_mul_f32_e32 v146, 0x3ee437d1, v63
	v_add_f32_e32 v143, v143, v129
	v_sub_f32_e32 v142, v158, v142
	v_add_f32_e32 v120, v120, v132
	v_add_f32_e32 v131, v131, v164
	;; [unrolled: 1-line block ×5, first 2 shown]
	v_sub_f32_e32 v94, v177, v94
	v_add_f32_e32 v104, v110, v113
	v_sub_f32_e32 v110, v151, v111
	v_mul_f32_e32 v157, 0xbf7ba420, v59
	v_mul_f32_e32 v178, 0xbf59a7d5, v68
	;; [unrolled: 1-line block ×3, first 2 shown]
	v_add_f32_e32 v129, v156, v128
	v_add_f32_e32 v128, v155, v149
	v_mul_f32_e32 v149, 0xbf59a7d5, v67
	v_add_f32_e32 v142, v142, v143
	v_add_f32_e32 v120, v131, v120
	v_mul_f32_e32 v131, 0x3f3d2fb0, v87
	v_sub_f32_e32 v139, v146, v139
	v_add_f32_e32 v100, v100, v102
	v_add_f32_e32 v101, v101, v160
	v_add_f32_e32 v93, v94, v93
	v_sub_f32_e32 v94, v163, v95
	v_add_f32_e32 v95, v110, v104
	v_sub_f32_e32 v102, v179, v115
	v_mul_f32_e32 v165, 0xbf59a7d5, v63
	v_mul_f32_e32 v158, 0xbe8c1d8e, v69
	v_add_f32_e32 v131, v147, v131
	v_mul_f32_e32 v147, 0x3dbcf732, v73
	v_add_f32_e32 v139, v139, v142
	v_sub_f32_e32 v140, v149, v140
	v_add_f32_e32 v100, v101, v100
	v_add_f32_e32 v101, v103, v178
	;; [unrolled: 1-line block ×3, first 2 shown]
	v_sub_f32_e32 v94, v157, v96
	v_add_f32_e32 v95, v102, v95
	v_sub_f32_e32 v96, v132, v116
	v_mul_f32_e32 v184, 0x3f6eb680, v51
	v_mul_f32_e32 v176, 0xbe8c1d8e, v67
	;; [unrolled: 1-line block ×3, first 2 shown]
	v_add_f32_e32 v139, v140, v139
	v_mul_f32_e32 v140, 0xbf59a7d5, v75
	v_add_f32_e32 v100, v101, v100
	v_add_f32_e32 v101, v105, v158
	;; [unrolled: 1-line block ×3, first 2 shown]
	v_sub_f32_e32 v94, v165, v98
	v_add_f32_e32 v95, v96, v95
	v_sub_f32_e32 v96, v147, v117
	v_add_f32_e32 v11, v11, v9
	v_add_f32_e32 v10, v10, v8
	v_mul_f32_e32 v175, 0x3f3d2fb0, v53
	v_add_f32_e32 v98, v101, v100
	v_add_f32_e32 v100, v107, v146
	;; [unrolled: 1-line block ×3, first 2 shown]
	v_sub_f32_e32 v94, v176, v99
	v_add_f32_e32 v95, v96, v95
	v_sub_f32_e32 v96, v140, v118
	v_add_f32_e32 v102, v66, v184
	v_add_f32_e32 v11, v37, v11
	;; [unrolled: 1-line block ×3, first 2 shown]
	v_mul_f32_e32 v167, 0x3ee437d1, v55
	v_add_f32_e32 v98, v100, v98
	v_add_f32_e32 v100, v94, v93
	;; [unrolled: 1-line block ×7, first 2 shown]
	v_mul_f32_e32 v161, 0x3dbcf732, v60
	v_mul_f32_e32 v150, 0xbe8c1d8e, v68
	v_add_f32_e32 v37, v62, v96
	v_add_f32_e32 v62, v71, v167
	;; [unrolled: 1-line block ×4, first 2 shown]
	v_mul_f32_e32 v133, 0xbf1a4643, v69
	v_add_f32_e32 v47, v194, v47
	v_add_f32_e32 v36, v62, v37
	;; [unrolled: 1-line block ×6, first 2 shown]
	v_mul_f32_e32 v143, 0xbf59a7d5, v76
	v_add_f32_e32 v36, v37, v36
	v_add_f32_e32 v11, v29, v11
	;; [unrolled: 1-line block ×8, first 2 shown]
	v_mul_f32_e32 v182, 0x3f6eb680, v50
	v_mul_f32_e32 v149, 0xbf7ba420, v87
	v_add_f32_e32 v28, v34, v29
	v_add_f32_e32 v29, v91, v143
	v_add_f32_e32 v11, v25, v11
	v_add_f32_e32 v10, v24, v10
	v_add_f32_e32 v47, v188, v47
	v_mul_f32_e32 v188, 0x3f3d2fb0, v52
	v_sub_f32_e32 v64, v182, v64
	v_add_f32_e32 v28, v29, v28
	v_add_f32_e32 v11, v27, v11
	;; [unrolled: 1-line block ×4, first 2 shown]
	v_mul_f32_e32 v166, 0x3ee437d1, v54
	v_add_f32_e32 v64, v64, v8
	v_sub_f32_e32 v61, v188, v61
	v_add_f32_e32 v21, v21, v11
	v_add_f32_e32 v11, v27, v28
	v_fma_f32 v27, 0xbf1a4643, v51, -v171
	v_fmac_f32_e32 v185, 0xbf1a4643, v50
	v_add_f32_e32 v20, v20, v26
	v_mul_f32_e32 v159, 0x3dbcf732, v59
	v_add_f32_e32 v61, v61, v64
	v_sub_f32_e32 v39, v166, v65
	v_add_f32_e32 v21, v23, v21
	v_add_f32_e32 v9, v27, v9
	v_fma_f32 v23, 0xbe8c1d8e, v53, -v114
	v_add_f32_e32 v8, v185, v8
	v_fmac_f32_e32 v181, 0xbe8c1d8e, v52
	v_add_f32_e32 v20, v22, v20
	v_mul_f32_e32 v153, 0xbe8c1d8e, v60
	v_mul_f32_e32 v152, 0xbe8c1d8e, v63
	v_add_f32_e32 v33, v39, v61
	v_sub_f32_e32 v38, v159, v70
	v_add_f32_e32 v17, v17, v21
	v_add_f32_e32 v9, v23, v9
	v_fma_f32 v21, 0x3f6eb680, v55, -v121
	v_add_f32_e32 v8, v181, v8
	v_fmac_f32_e32 v186, 0x3f6eb680, v54
	v_add_f32_e32 v16, v16, v20
	v_mul_f32_e32 v145, 0x3f3d2fb0, v68
	v_add_f32_e32 v127, v127, v153
	v_mul_f32_e32 v162, 0xbf1a4643, v67
	v_add_f32_e32 v32, v38, v33
	v_sub_f32_e32 v33, v152, v74
	v_add_f32_e32 v17, v19, v17
	v_add_f32_e32 v9, v21, v9
	v_fma_f32 v19, 0xbf59a7d5, v60, -v122
	v_add_f32_e32 v8, v186, v8
	v_fmac_f32_e32 v174, 0xbf59a7d5, v59
	v_add_f32_e32 v16, v18, v16
	v_mul_f32_e32 v164, 0x3f6eb680, v69
	v_add_f32_e32 v120, v127, v120
	v_add_f32_e32 v126, v126, v145
	v_mul_f32_e32 v155, 0xbf59a7d5, v73
	v_add_f32_e32 v32, v33, v32
	v_sub_f32_e32 v31, v162, v77
	v_add_f32_e32 v13, v13, v17
	v_add_f32_e32 v9, v19, v9
	v_fma_f32 v17, 0x3dbcf732, v68, -v108
	v_add_f32_e32 v8, v174, v8
	v_fmac_f32_e32 v180, 0x3dbcf732, v63
	v_add_f32_e32 v12, v12, v16
	v_mul_f32_e32 v153, 0x3ee437d1, v73
	v_mul_f32_e32 v127, 0x3dbcf732, v76
	;; [unrolled: 1-line block ×3, first 2 shown]
	v_add_f32_e32 v120, v126, v120
	v_add_f32_e32 v130, v130, v164
	v_mul_f32_e32 v142, 0xbf7ba420, v75
	v_add_f32_e32 v25, v31, v32
	v_sub_f32_e32 v30, v155, v88
	v_add_f32_e32 v13, v15, v13
	v_add_f32_e32 v15, v17, v9
	v_fma_f32 v16, 0x3f3d2fb0, v69, -v112
	v_add_f32_e32 v8, v180, v8
	v_fmac_f32_e32 v170, 0x3f3d2fb0, v67
	v_add_f32_e32 v12, v14, v12
	v_mul_lo_u16 v14, v85, 17
	v_mul_f32_e32 v126, 0x3f6eb680, v75
	v_mul_f32_e32 v156, 0x3f6eb680, v87
	v_sub_f32_e32 v141, v145, v141
	v_mul_f32_e32 v145, 0xbf59a7d5, v87
	v_add_f32_e32 v130, v130, v120
	v_add_f32_e32 v127, v136, v127
	v_sub_f32_e32 v101, v153, v106
	v_mul_f32_e32 v164, 0x3f3d2fb0, v75
	v_add_f32_e32 v24, v30, v25
	v_sub_f32_e32 v25, v142, v90
	v_add_f32_e32 v9, v41, v13
	v_add_f32_e32 v13, v16, v15
	v_fma_f32 v15, 0xbf7ba420, v76, -v134
	v_add_f32_e32 v16, v170, v8
	v_fmac_f32_e32 v169, 0xbf7ba420, v73
	v_add_f32_e32 v8, v40, v12
	v_and_b32_e32 v12, 0xffff, v14
	v_add_f32_e32 v127, v127, v130
	v_add_f32_e32 v125, v135, v145
	;; [unrolled: 1-line block ×4, first 2 shown]
	v_sub_f32_e32 v97, v126, v97
	v_add_f32_e32 v120, v131, v148
	v_add_f32_e32 v131, v141, v139
	v_sub_f32_e32 v136, v164, v138
	v_add_f32_e32 v10, v25, v24
	v_add_f32_e32 v13, v15, v13
	v_fma_f32 v14, 0x3ee437d1, v87, -v144
	v_add_f32_e32 v15, v169, v16
	v_fmac_f32_e32 v137, 0x3ee437d1, v75
	v_add_lshl_u32 v16, v84, v12, 3
	v_add_f32_e32 v94, v125, v127
	v_add_f32_e32 v66, v99, v98
	;; [unrolled: 1-line block ×6, first 2 shown]
	ds_write2_b64 v16, v[8:9], v[10:11] offset1:1
	ds_write2_b64 v16, v[65:66], v[93:94] offset0:2 offset1:3
	ds_write2_b64 v16, v[119:120], v[128:129] offset0:4 offset1:5
	;; [unrolled: 1-line block ×7, first 2 shown]
	ds_write_b64 v16, v[57:58] offset:128
.LBB0_7:
	s_or_b32 exec_lo, exec_lo, s4
	v_add_co_u32 v42, null, v85, 34
	v_mad_u64_u32 v[40:41], null, v85, 24, s[2:3]
	s_load_dwordx4 s[4:7], s[0:1], 0x0
	v_and_b32_e32 v12, 0xff, v42
	s_waitcnt lgkmcnt(0)
	s_barrier
	buffer_gl0_inv
	s_clause 0x1
	global_load_dwordx4 v[8:11], v[40:41], off
	global_load_dwordx2 v[59:60], v[40:41], off offset:16
	v_mul_lo_u16 v12, 0xf1, v12
	v_add_lshl_u32 v87, v84, v85, 3
	v_lshlrev_b32_e32 v44, 4, v85
	v_sub_co_u32 v40, s0, v40, v80
	v_lshrrev_b16 v12, 12, v12
	v_subrev_co_ci_u32_e64 v41, s0, 0, v41, s0
	v_add_nc_u32_e32 v45, 0x110, v44
	v_lshl_add_u32 v88, v85, 3, v86
	v_mul_lo_u16 v12, v12, 17
	v_sub_nc_u16 v12, v42, v12
	v_and_b32_e32 v43, 0xff, v12
	v_mad_u64_u32 v[16:17], null, v43, 24, s[2:3]
	v_add_lshl_u32 v89, v84, v43, 3
	s_clause 0x1
	global_load_dwordx4 v[12:15], v[16:17], off
	global_load_dwordx2 v[61:62], v[16:17], off offset:16
	ds_read2_b64 v[16:19], v87 offset0:34 offset1:51
	ds_read2_b64 v[20:23], v87 offset0:102 offset1:119
	;; [unrolled: 1-line block ×4, first 2 shown]
	ds_read2_b64 v[32:35], v87 offset1:17
	ds_read2_b64 v[36:39], v87 offset0:170 offset1:187
	s_waitcnt vmcnt(0) lgkmcnt(0)
	s_barrier
	buffer_gl0_inv
	v_mul_f32_e32 v43, v19, v9
	v_mul_f32_e32 v46, v18, v9
	;; [unrolled: 1-line block ×12, first 2 shown]
	v_fma_f32 v18, v18, v8, -v43
	v_fmac_f32_e32 v46, v19, v8
	v_fma_f32 v19, v20, v10, -v47
	v_fma_f32 v20, v26, v59, -v49
	v_fmac_f32_e32 v48, v21, v10
	v_fmac_f32_e32 v50, v27, v59
	v_fma_f32 v21, v28, v8, -v51
	v_fmac_f32_e32 v52, v29, v8
	v_fma_f32 v22, v22, v10, -v53
	;; [unrolled: 2-line block ×3, first 2 shown]
	v_fmac_f32_e32 v63, v37, v59
	v_sub_f32_e32 v26, v32, v19
	v_sub_f32_e32 v19, v18, v20
	;; [unrolled: 1-line block ×8, first 2 shown]
	v_fma_f32 v43, v32, 2.0, -v26
	v_fma_f32 v28, v18, 2.0, -v19
	;; [unrolled: 1-line block ×4, first 2 shown]
	v_sub_f32_e32 v18, v26, v20
	v_fma_f32 v46, v34, 2.0, -v36
	v_fma_f32 v48, v35, 2.0, -v37
	;; [unrolled: 1-line block ×4, first 2 shown]
	v_sub_f32_e32 v20, v36, v23
	v_add_f32_e32 v21, v37, v22
	v_sub_f32_e32 v22, v43, v28
	v_sub_f32_e32 v23, v47, v29
	;; [unrolled: 1-line block ×4, first 2 shown]
	v_fma_f32 v32, v36, 2.0, -v20
	v_fma_f32 v33, v37, 2.0, -v21
	;; [unrolled: 1-line block ×3, first 2 shown]
	v_mul_f32_e32 v35, v31, v13
	v_mul_f32_e32 v36, v30, v13
	;; [unrolled: 1-line block ×6, first 2 shown]
	v_fma_f32 v30, v30, v12, -v35
	v_fmac_f32_e32 v36, v31, v12
	v_fma_f32 v24, v24, v14, -v37
	v_fmac_f32_e32 v43, v25, v14
	;; [unrolled: 2-line block ×3, first 2 shown]
	v_add_f32_e32 v19, v27, v19
	v_sub_f32_e32 v37, v16, v24
	v_sub_f32_e32 v38, v17, v43
	;; [unrolled: 1-line block ×4, first 2 shown]
	v_fma_f32 v24, v46, 2.0, -v28
	v_fma_f32 v43, v16, 2.0, -v37
	;; [unrolled: 1-line block ×5, first 2 shown]
	v_sub_f32_e32 v16, v37, v39
	v_add_f32_e32 v17, v38, v31
	v_fma_f32 v26, v26, 2.0, -v18
	v_sub_f32_e32 v30, v43, v30
	v_sub_f32_e32 v31, v46, v36
	v_fma_f32 v27, v27, 2.0, -v19
	v_fma_f32 v35, v47, 2.0, -v23
	;; [unrolled: 1-line block ×3, first 2 shown]
	ds_write2_b64 v87, v[22:23], v[18:19] offset0:34 offset1:51
	v_fma_f32 v18, v37, 2.0, -v16
	v_fma_f32 v19, v38, 2.0, -v17
	;; [unrolled: 1-line block ×4, first 2 shown]
	ds_write2_b64 v87, v[28:29], v[20:21] offset0:102 offset1:119
	ds_write2_b64 v87, v[34:35], v[26:27] offset1:17
	ds_write2_b64 v87, v[24:25], v[32:33] offset0:68 offset1:85
	ds_write2_b64 v89, v[30:31], v[16:17] offset0:170 offset1:187
	ds_write2_b64 v89, v[22:23], v[18:19] offset0:136 offset1:153
	v_lshlrev_b32_e32 v16, 4, v42
	v_add_nc_u32_e32 v17, 0x330, v44
	s_waitcnt lgkmcnt(0)
	s_barrier
	buffer_gl0_inv
	s_clause 0x3
	global_load_dwordx4 v[28:31], v[40:41], off offset:408
	global_load_dwordx4 v[24:27], v45, s[2:3] offset:408
	global_load_dwordx4 v[20:23], v16, s[2:3] offset:408
	;; [unrolled: 1-line block ×3, first 2 shown]
	ds_read2_b64 v[32:35], v87 offset0:68 offset1:85
	ds_read2_b64 v[44:47], v87 offset0:136 offset1:153
	;; [unrolled: 1-line block ×4, first 2 shown]
	ds_read2_b64 v[40:43], v87 offset1:17
	ds_read2_b64 v[36:39], v87 offset0:34 offset1:51
	v_add_nc_u32_e32 v63, v80, v86
	s_waitcnt vmcnt(3) lgkmcnt(5)
	v_mul_f32_e32 v64, v33, v29
	v_mul_f32_e32 v65, v32, v29
	s_waitcnt lgkmcnt(4)
	v_mul_f32_e32 v66, v45, v31
	v_mul_f32_e32 v67, v44, v31
	s_waitcnt vmcnt(2)
	v_mul_f32_e32 v68, v35, v25
	v_mul_f32_e32 v69, v34, v25
	;; [unrolled: 1-line block ×4, first 2 shown]
	s_waitcnt vmcnt(1) lgkmcnt(3)
	v_mul_f32_e32 v72, v49, v21
	v_mul_f32_e32 v73, v48, v21
	s_waitcnt lgkmcnt(2)
	v_mul_f32_e32 v74, v53, v23
	v_mul_f32_e32 v75, v52, v23
	s_waitcnt vmcnt(0)
	v_mul_f32_e32 v76, v51, v17
	v_mul_f32_e32 v77, v50, v17
	;; [unrolled: 1-line block ×4, first 2 shown]
	v_fma_f32 v32, v32, v28, -v64
	v_fmac_f32_e32 v65, v33, v28
	v_fma_f32 v33, v44, v30, -v66
	v_fmac_f32_e32 v67, v45, v30
	;; [unrolled: 2-line block ×8, first 2 shown]
	s_waitcnt lgkmcnt(1)
	v_add_f32_e32 v48, v40, v32
	v_add_f32_e32 v49, v32, v33
	v_sub_f32_e32 v54, v65, v67
	v_add_f32_e32 v50, v41, v65
	v_add_f32_e32 v51, v65, v67
	v_add_f32_e32 v52, v42, v34
	v_add_f32_e32 v53, v34, v35
	v_sub_f32_e32 v64, v69, v71
	v_add_f32_e32 v65, v43, v69
	v_add_f32_e32 v66, v69, v71
	v_sub_f32_e32 v68, v34, v35
	s_waitcnt lgkmcnt(0)
	v_add_f32_e32 v34, v36, v44
	v_add_f32_e32 v69, v44, v45
	v_sub_f32_e32 v70, v73, v75
	v_add_f32_e32 v72, v37, v73
	v_add_f32_e32 v73, v73, v75
	;; [unrolled: 1-line block ×3, first 2 shown]
	v_sub_f32_e32 v91, v77, v90
	v_add_f32_e32 v92, v39, v77
	v_add_f32_e32 v77, v77, v90
	v_sub_f32_e32 v55, v32, v33
	v_sub_f32_e32 v74, v44, v45
	v_add_f32_e32 v76, v38, v46
	v_sub_f32_e32 v93, v46, v47
	v_add_f32_e32 v32, v48, v33
	v_fma_f32 v48, -0.5, v49, v40
	v_add_f32_e32 v33, v50, v67
	v_fma_f32 v49, -0.5, v51, v41
	;; [unrolled: 2-line block ×3, first 2 shown]
	v_fmac_f32_e32 v43, -0.5, v66
	v_add_f32_e32 v52, v34, v45
	v_fma_f32 v44, -0.5, v69, v36
	v_fma_f32 v45, -0.5, v73, v37
	;; [unrolled: 1-line block ×3, first 2 shown]
	v_fmac_f32_e32 v39, -0.5, v77
	v_add_f32_e32 v51, v65, v71
	v_add_f32_e32 v53, v72, v75
	;; [unrolled: 1-line block ×4, first 2 shown]
	v_fmamk_f32 v34, v54, 0x3f5db3d7, v48
	v_fmac_f32_e32 v48, 0xbf5db3d7, v54
	v_fmamk_f32 v35, v55, 0xbf5db3d7, v49
	v_fmac_f32_e32 v49, 0x3f5db3d7, v55
	;; [unrolled: 2-line block ×8, first 2 shown]
	ds_write2_b64 v88, v[32:33], v[50:51] offset1:17
	ds_write_b64 v88, v[52:53] offset:272
	ds_write2_b64 v88, v[34:35], v[40:41] offset0:68 offset1:85
	ds_write2_b64 v88, v[48:49], v[42:43] offset0:136 offset1:153
	ds_write_b64 v63, v[54:55] offset:816
	ds_write_b64 v63, v[44:45] offset:1360
	;; [unrolled: 1-line block ×5, first 2 shown]
	s_waitcnt lgkmcnt(0)
	s_barrier
	buffer_gl0_inv
	s_and_saveexec_b32 s2, vcc_lo
	s_cbranch_execz .LBB0_9
; %bb.8:
	s_add_u32 s0, s12, 0x660
	s_addc_u32 s1, s13, 0
	s_clause 0x10
	global_load_dwordx2 v[76:77], v80, s[12:13] offset:1632
	global_load_dwordx2 v[110:111], v80, s[0:1] offset:96
	;; [unrolled: 1-line block ×17, first 2 shown]
	ds_read2_b64 v[64:67], v88 offset1:12
	ds_read2_b64 v[68:71], v88 offset0:24 offset1:36
	ds_read2_b64 v[72:75], v88 offset0:48 offset1:60
	;; [unrolled: 1-line block ×7, first 2 shown]
	ds_read_b64 v[142:143], v88 offset:1536
	s_waitcnt vmcnt(16) lgkmcnt(8)
	v_mul_f32_e32 v144, v65, v77
	v_mul_f32_e32 v78, v64, v77
	s_waitcnt vmcnt(15)
	v_mul_f32_e32 v146, v67, v111
	v_mul_f32_e32 v145, v66, v111
	s_waitcnt vmcnt(14) lgkmcnt(7)
	v_mul_f32_e32 v147, v69, v113
	v_mul_f32_e32 v111, v68, v113
	s_waitcnt vmcnt(13)
	v_mul_f32_e32 v148, v71, v115
	v_mul_f32_e32 v113, v70, v115
	;; [unrolled: 6-line block ×8, first 2 shown]
	s_waitcnt vmcnt(0) lgkmcnt(0)
	v_mul_f32_e32 v161, v143, v141
	v_mul_f32_e32 v139, v142, v141
	v_fma_f32 v77, v64, v76, -v144
	v_fmac_f32_e32 v78, v65, v76
	v_fma_f32 v144, v66, v110, -v146
	v_fmac_f32_e32 v145, v67, v110
	;; [unrolled: 2-line block ×17, first 2 shown]
	ds_write2_b64 v88, v[77:78], v[144:145] offset1:12
	ds_write2_b64 v88, v[110:111], v[112:113] offset0:24 offset1:36
	ds_write2_b64 v88, v[114:115], v[116:117] offset0:48 offset1:60
	ds_write2_b64 v88, v[118:119], v[120:121] offset0:72 offset1:84
	ds_write2_b64 v88, v[122:123], v[124:125] offset0:96 offset1:108
	ds_write2_b64 v88, v[126:127], v[128:129] offset0:120 offset1:132
	ds_write2_b64 v88, v[130:131], v[132:133] offset0:144 offset1:156
	ds_write2_b64 v88, v[134:135], v[136:137] offset0:168 offset1:180
	ds_write_b64 v88, v[138:139] offset:1536
.LBB0_9:
	s_or_b32 exec_lo, exec_lo, s2
	s_waitcnt lgkmcnt(0)
	s_barrier
	buffer_gl0_inv
	s_and_saveexec_b32 s0, vcc_lo
	s_cbranch_execz .LBB0_11
; %bb.10:
	ds_read2_b64 v[32:35], v88 offset1:12
	ds_read2_b64 v[48:51], v88 offset0:24 offset1:36
	ds_read2_b64 v[40:43], v88 offset0:48 offset1:60
	;; [unrolled: 1-line block ×7, first 2 shown]
	ds_read_b64 v[57:58], v88 offset:1536
.LBB0_11:
	s_or_b32 exec_lo, exec_lo, s0
	v_add_nc_u32_e32 v91, 0x110, v63
	v_add_nc_u32_e32 v90, 0x198, v63
	s_waitcnt lgkmcnt(0)
	s_barrier
	buffer_gl0_inv
	s_and_saveexec_b32 s0, vcc_lo
	s_cbranch_execz .LBB0_13
; %bb.12:
	v_sub_f32_e32 v98, v34, v57
	v_add_f32_e32 v123, v58, v35
	v_sub_f32_e32 v95, v48, v2
	v_add_f32_e32 v122, v3, v49
	v_sub_f32_e32 v93, v50, v0
	v_mul_f32_e32 v67, 0xbf06c442, v98
	v_add_f32_e32 v121, v1, v51
	v_mul_f32_e32 v68, 0x3f65296c, v95
	v_sub_f32_e32 v94, v40, v6
	v_mul_f32_e32 v69, 0xbf7ee86f, v93
	v_fmamk_f32 v63, v123, 0xbf59a7d5, v67
	v_add_f32_e32 v118, v7, v41
	v_fmamk_f32 v64, v122, 0x3ee437d1, v68
	v_sub_f32_e32 v96, v42, v4
	v_mul_f32_e32 v70, 0x3f4c4adb, v94
	v_add_f32_e32 v63, v33, v63
	v_fmamk_f32 v65, v121, 0x3dbcf732, v69
	v_sub_f32_e32 v111, v35, v58
	v_add_f32_e32 v119, v5, v43
	v_sub_f32_e32 v97, v52, v38
	v_add_f32_e32 v63, v64, v63
	v_mul_f32_e32 v71, 0xbeb8f4ab, v96
	v_fmamk_f32 v64, v118, 0xbf1a4643, v70
	v_add_f32_e32 v100, v57, v34
	v_mul_f32_e32 v73, 0xbf06c442, v111
	v_add_f32_e32 v63, v65, v63
	v_sub_f32_e32 v108, v49, v3
	v_add_f32_e32 v120, v39, v53
	v_sub_f32_e32 v92, v54, v36
	v_mul_f32_e32 v72, 0xbe3c28d5, v97
	v_fmamk_f32 v65, v119, 0x3f6eb680, v71
	v_add_f32_e32 v63, v64, v63
	v_add_f32_e32 v101, v2, v48
	v_fma_f32 v66, 0xbf59a7d5, v100, -v73
	v_mul_f32_e32 v74, 0x3f65296c, v108
	v_sub_f32_e32 v109, v51, v1
	v_fmamk_f32 v64, v120, 0xbf7ba420, v72
	v_add_f32_e32 v63, v65, v63
	v_mul_f32_e32 v75, 0x3f2c7751, v92
	v_add_f32_e32 v112, v37, v55
	v_add_f32_e32 v65, v32, v66
	v_fma_f32 v66, 0x3ee437d1, v101, -v74
	v_add_f32_e32 v102, v0, v50
	v_mul_f32_e32 v76, 0xbf7ee86f, v109
	v_sub_f32_e32 v110, v41, v7
	v_add_f32_e32 v63, v64, v63
	v_fmamk_f32 v64, v112, 0x3f3d2fb0, v75
	v_add_f32_e32 v65, v66, v65
	v_fma_f32 v66, 0x3dbcf732, v102, -v76
	v_add_f32_e32 v103, v6, v40
	v_mul_f32_e32 v77, 0x3f4c4adb, v110
	v_sub_f32_e32 v113, v43, v5
	v_sub_f32_e32 v99, v44, v46
	v_add_f32_e32 v63, v64, v63
	v_add_f32_e32 v64, v66, v65
	v_fma_f32 v65, 0xbf1a4643, v103, -v77
	v_add_f32_e32 v104, v4, v42
	v_mul_f32_e32 v78, 0xbeb8f4ab, v113
	v_mul_f32_e32 v124, 0xbf763a35, v99
	v_sub_f32_e32 v114, v53, v39
	v_add_f32_e32 v117, v47, v45
	v_add_f32_e32 v64, v65, v64
	v_fma_f32 v65, 0x3f6eb680, v104, -v78
	v_add_f32_e32 v105, v38, v52
	v_mul_f32_e32 v127, 0xbe3c28d5, v114
	v_fmamk_f32 v66, v117, 0xbe8c1d8e, v124
	v_sub_f32_e32 v115, v55, v37
	v_add_f32_e32 v65, v65, v64
	v_add_f32_e32 v106, v36, v54
	v_fma_f32 v107, 0xbf7ba420, v105, -v127
	v_add_f32_e32 v64, v66, v63
	v_mul_f32_e32 v66, 0xbe3c28d5, v98
	v_mul_f32_e32 v128, 0x3f2c7751, v115
	v_sub_f32_e32 v116, v45, v47
	v_add_f32_e32 v63, v107, v65
	v_mul_f32_e32 v125, 0x3eb8f4ab, v95
	v_fmamk_f32 v65, v123, 0xbf7ba420, v66
	v_fma_f32 v126, 0x3f3d2fb0, v106, -v128
	v_add_f32_e32 v107, v46, v44
	v_mul_f32_e32 v129, 0xbf763a35, v116
	v_fmamk_f32 v130, v122, 0x3f6eb680, v125
	v_add_f32_e32 v65, v33, v65
	v_mul_f32_e32 v131, 0xbf06c442, v93
	v_add_f32_e32 v63, v126, v63
	v_fma_f32 v126, 0xbe8c1d8e, v107, -v129
	v_mul_f32_e32 v132, 0xbe3c28d5, v111
	v_add_f32_e32 v65, v130, v65
	v_fmamk_f32 v130, v121, 0xbf59a7d5, v131
	v_mul_f32_e32 v133, 0x3f2c7751, v94
	v_add_f32_e32 v63, v126, v63
	v_fma_f32 v126, 0xbf7ba420, v100, -v132
	v_mul_f32_e32 v134, 0x3eb8f4ab, v108
	v_add_f32_e32 v65, v130, v65
	v_fmamk_f32 v130, v118, 0x3f3d2fb0, v133
	;; [unrolled: 6-line block ×5, first 2 shown]
	v_mul_f32_e32 v142, 0x3f7ee86f, v99
	v_add_f32_e32 v126, v136, v126
	v_fma_f32 v136, 0xbf1a4643, v104, -v141
	v_mul_f32_e32 v143, 0x3f65296c, v114
	v_fma_f32 v66, 0xbf7ba420, v123, -v66
	v_add_f32_e32 v65, v130, v65
	v_fmamk_f32 v130, v117, 0x3dbcf732, v142
	v_add_f32_e32 v126, v136, v126
	v_fma_f32 v136, 0x3ee437d1, v105, -v143
	v_add_f32_e32 v144, v33, v66
	v_fmac_f32_e32 v132, 0xbf7ba420, v100
	v_add_f32_e32 v66, v130, v65
	v_mul_f32_e32 v130, 0xbf763a35, v115
	v_add_f32_e32 v65, v136, v126
	v_fma_f32 v126, 0xbf59a7d5, v121, -v131
	v_mul_f32_e32 v136, 0x3f7ee86f, v116
	v_add_f32_e32 v132, v32, v132
	v_fma_f32 v131, 0xbe8c1d8e, v106, -v130
	v_fmac_f32_e32 v134, 0x3f6eb680, v101
	v_fma_f32 v125, 0x3f6eb680, v122, -v125
	v_fmac_f32_e32 v137, 0xbf59a7d5, v102
	v_fma_f32 v67, 0xbf59a7d5, v123, -v67
	v_add_f32_e32 v65, v131, v65
	v_fma_f32 v131, 0x3dbcf732, v107, -v136
	v_add_f32_e32 v132, v134, v132
	v_add_f32_e32 v125, v125, v144
	v_fmac_f32_e32 v139, 0x3f3d2fb0, v103
	v_add_f32_e32 v67, v33, v67
	v_add_f32_e32 v65, v131, v65
	;; [unrolled: 1-line block ×4, first 2 shown]
	v_fma_f32 v126, 0x3f3d2fb0, v118, -v133
	v_fma_f32 v68, 0x3ee437d1, v122, -v68
	v_fmac_f32_e32 v141, 0xbf1a4643, v104
	v_add_f32_e32 v131, v139, v131
	v_fmac_f32_e32 v143, 0x3ee437d1, v105
	v_add_f32_e32 v125, v126, v125
	v_fma_f32 v126, 0xbf1a4643, v119, -v135
	v_add_f32_e32 v67, v68, v67
	v_fma_f32 v68, 0x3dbcf732, v121, -v69
	v_add_f32_e32 v69, v141, v131
	v_fma_f32 v70, 0xbf1a4643, v118, -v70
	v_add_f32_e32 v125, v126, v125
	v_fma_f32 v126, 0x3ee437d1, v120, -v138
	v_add_f32_e32 v67, v68, v67
	v_add_f32_e32 v69, v143, v69
	v_fmac_f32_e32 v130, 0xbe8c1d8e, v106
	v_fmac_f32_e32 v73, 0xbf59a7d5, v100
	v_add_f32_e32 v125, v126, v125
	v_fma_f32 v126, 0xbe8c1d8e, v112, -v140
	v_add_f32_e32 v67, v70, v67
	v_fma_f32 v70, 0x3f6eb680, v119, -v71
	v_add_f32_e32 v69, v130, v69
	v_add_f32_e32 v71, v32, v73
	v_fmac_f32_e32 v74, 0x3ee437d1, v101
	v_fmac_f32_e32 v136, 0x3dbcf732, v107
	v_mul_f32_e32 v138, 0xbf1a4643, v123
	v_add_f32_e32 v125, v126, v125
	v_fma_f32 v126, 0x3dbcf732, v117, -v142
	v_add_f32_e32 v70, v70, v67
	v_fma_f32 v72, 0xbf7ba420, v120, -v72
	v_add_f32_e32 v71, v74, v71
	v_fmac_f32_e32 v76, 0x3dbcf732, v102
	v_add_f32_e32 v67, v136, v69
	v_fmamk_f32 v69, v98, 0x3f4c4adb, v138
	v_mul_f32_e32 v139, 0xbe8c1d8e, v122
	v_add_f32_e32 v68, v126, v125
	v_add_f32_e32 v70, v72, v70
	;; [unrolled: 1-line block ×3, first 2 shown]
	v_fmac_f32_e32 v77, 0xbf1a4643, v103
	v_add_f32_e32 v69, v33, v69
	v_fmamk_f32 v72, v95, 0xbf763a35, v139
	v_mul_f32_e32 v125, 0x3f6eb680, v121
	v_fmac_f32_e32 v78, 0x3f6eb680, v104
	v_add_f32_e32 v71, v77, v71
	v_mul_f32_e32 v126, 0xbf59a7d5, v118
	v_add_f32_e32 v69, v72, v69
	v_fmamk_f32 v72, v93, 0x3eb8f4ab, v125
	v_fma_f32 v73, 0x3f3d2fb0, v112, -v75
	v_add_f32_e32 v71, v78, v71
	v_fmac_f32_e32 v127, 0xbf7ba420, v105
	v_mul_f32_e32 v130, 0x3dbcf732, v119
	v_add_f32_e32 v69, v72, v69
	v_fmamk_f32 v72, v94, 0x3f06c442, v126
	v_add_f32_e32 v70, v73, v70
	v_fma_f32 v73, 0xbe8c1d8e, v117, -v124
	v_add_f32_e32 v71, v127, v71
	v_fmac_f32_e32 v128, 0x3f3d2fb0, v106
	v_add_f32_e32 v69, v72, v69
	v_fmamk_f32 v72, v96, 0xbf7ee86f, v130
	v_mul_f32_e32 v131, 0x3f3d2fb0, v120
	v_mul_f32_e32 v143, 0xbf4c4adb, v111
	v_add_f32_e32 v70, v73, v70
	v_add_f32_e32 v71, v128, v71
	;; [unrolled: 1-line block ×3, first 2 shown]
	v_fmamk_f32 v72, v97, 0x3f2c7751, v131
	v_fmac_f32_e32 v129, 0xbe8c1d8e, v107
	v_fmamk_f32 v73, v100, 0xbf1a4643, v143
	v_mul_f32_e32 v144, 0x3f763a35, v108
	v_mul_f32_e32 v146, 0xbeb8f4ab, v109
	v_add_f32_e32 v72, v72, v69
	v_add_f32_e32 v69, v129, v71
	;; [unrolled: 1-line block ×3, first 2 shown]
	v_fmamk_f32 v73, v101, 0xbe8c1d8e, v144
	v_mul_f32_e32 v141, 0xbe8c1d8e, v123
	v_mul_f32_e32 v157, 0xbf06c442, v110
	;; [unrolled: 1-line block ×4, first 2 shown]
	v_add_f32_e32 v71, v73, v71
	v_fmamk_f32 v73, v102, 0x3f6eb680, v146
	v_fmamk_f32 v75, v98, 0x3f763a35, v141
	v_mul_f32_e32 v158, 0x3f7ee86f, v113
	v_fmamk_f32 v76, v95, 0xbf06c442, v135
	v_mul_f32_e32 v136, 0x3f3d2fb0, v121
	v_add_f32_e32 v71, v73, v71
	v_fmamk_f32 v73, v103, 0xbf59a7d5, v157
	v_add_f32_e32 v75, v33, v75
	v_fmamk_f32 v74, v92, 0x3e3c28d5, v132
	v_mul_f32_e32 v134, 0x3ee437d1, v117
	v_mul_f32_e32 v155, 0xbf2c7751, v114
	v_add_f32_e32 v71, v73, v71
	v_fmamk_f32 v73, v104, 0x3dbcf732, v158
	v_add_f32_e32 v75, v76, v75
	v_fmamk_f32 v76, v93, 0xbf2c7751, v136
	v_mul_f32_e32 v127, 0x3ee437d1, v118
	v_add_f32_e32 v72, v74, v72
	v_fmamk_f32 v74, v99, 0xbf65296c, v134
	v_add_f32_e32 v71, v73, v71
	v_fmamk_f32 v73, v105, 0x3f3d2fb0, v155
	v_mul_f32_e32 v140, 0xbe3c28d5, v115
	v_add_f32_e32 v75, v76, v75
	v_fmamk_f32 v76, v94, 0x3f65296c, v127
	v_mul_f32_e32 v128, 0xbf7ba420, v119
	v_add_f32_e32 v71, v73, v71
	v_fmamk_f32 v73, v106, 0xbf7ba420, v140
	v_add_f32_e32 v72, v74, v72
	v_add_f32_e32 v74, v76, v75
	v_fmamk_f32 v75, v96, 0x3e3c28d5, v128
	v_mul_f32_e32 v129, 0x3dbcf732, v120
	v_mul_f32_e32 v145, 0x3f65296c, v116
	v_mul_f32_e32 v159, 0xbf763a35, v111
	v_add_f32_e32 v71, v73, v71
	v_add_f32_e32 v73, v75, v74
	v_fmamk_f32 v74, v97, 0xbf7ee86f, v129
	v_mul_f32_e32 v133, 0x3f6eb680, v112
	v_fmamk_f32 v75, v107, 0x3ee437d1, v145
	v_fmamk_f32 v76, v100, 0xbe8c1d8e, v159
	v_mul_f32_e32 v160, 0x3f06c442, v108
	v_add_f32_e32 v73, v74, v73
	v_fmamk_f32 v74, v92, 0x3eb8f4ab, v133
	v_add_f32_e32 v71, v75, v71
	v_add_f32_e32 v75, v32, v76
	v_fmamk_f32 v76, v101, 0xbf59a7d5, v160
	v_mul_f32_e32 v161, 0x3f2c7751, v109
	v_mul_f32_e32 v162, 0x3dbcf732, v123
	v_add_f32_e32 v73, v74, v73
	v_mul_f32_e32 v163, 0xbf65296c, v110
	v_add_f32_e32 v74, v76, v75
	v_fmamk_f32 v75, v102, 0x3f3d2fb0, v161
	v_fmamk_f32 v77, v98, 0x3f7ee86f, v162
	v_mul_f32_e32 v164, 0xbf7ba420, v122
	v_mul_f32_e32 v165, 0xbe3c28d5, v113
	;; [unrolled: 1-line block ×3, first 2 shown]
	v_add_f32_e32 v74, v75, v74
	v_fmamk_f32 v75, v103, 0x3ee437d1, v163
	v_add_f32_e32 v77, v33, v77
	v_fmamk_f32 v78, v95, 0x3e3c28d5, v164
	v_mul_f32_e32 v124, 0xbf1a4643, v117
	v_mul_f32_e32 v167, 0x3f7ee86f, v114
	v_add_f32_e32 v74, v75, v74
	v_fmamk_f32 v75, v104, 0xbf7ba420, v165
	v_add_f32_e32 v77, v78, v77
	v_fmamk_f32 v78, v93, 0xbf763a35, v166
	v_mul_f32_e32 v150, 0x3f6eb680, v118
	v_fmamk_f32 v76, v99, 0x3f4c4adb, v124
	v_add_f32_e32 v74, v75, v74
	v_fmamk_f32 v75, v105, 0x3dbcf732, v167
	v_mul_f32_e32 v151, 0xbeb8f4ab, v115
	v_add_f32_e32 v77, v78, v77
	v_fmamk_f32 v78, v94, 0xbeb8f4ab, v150
	v_mul_f32_e32 v152, 0x3ee437d1, v119
	v_add_f32_e32 v75, v75, v74
	v_fmamk_f32 v137, v106, 0x3f6eb680, v151
	v_add_f32_e32 v74, v76, v73
	v_add_f32_e32 v73, v78, v77
	v_fmamk_f32 v76, v96, 0x3f65296c, v152
	v_mul_f32_e32 v153, 0xbf59a7d5, v120
	v_mul_f32_e32 v156, 0xbf4c4adb, v116
	;; [unrolled: 1-line block ×3, first 2 shown]
	v_add_f32_e32 v75, v137, v75
	v_add_f32_e32 v73, v76, v73
	v_fmamk_f32 v76, v97, 0x3f06c442, v153
	v_fmamk_f32 v77, v107, 0xbf1a4643, v156
	;; [unrolled: 1-line block ×3, first 2 shown]
	v_mul_f32_e32 v169, 0xbe3c28d5, v108
	v_mul_f32_e32 v170, 0x3f763a35, v109
	v_add_f32_e32 v76, v76, v73
	v_add_f32_e32 v73, v77, v75
	;; [unrolled: 1-line block ×3, first 2 shown]
	v_fmamk_f32 v77, v101, 0xbf7ba420, v169
	v_mul_f32_e32 v171, 0x3ee437d1, v123
	v_add_f32_e32 v35, v35, v33
	v_mul_f32_e32 v148, 0xbf1a4643, v112
	v_mul_f32_e32 v172, 0x3eb8f4ab, v110
	v_add_f32_e32 v75, v77, v75
	v_fmamk_f32 v77, v102, 0xbe8c1d8e, v170
	v_fmamk_f32 v142, v98, 0x3f65296c, v171
	v_mul_f32_e32 v173, 0xbf1a4643, v122
	v_add_f32_e32 v35, v49, v35
	v_add_f32_e32 v34, v34, v32
	v_fmamk_f32 v137, v92, 0xbf4c4adb, v148
	v_add_f32_e32 v75, v77, v75
	v_fmamk_f32 v77, v103, 0x3f6eb680, v172
	v_mul_f32_e32 v174, 0xbf65296c, v113
	v_add_f32_e32 v142, v33, v142
	v_fmamk_f32 v147, v95, 0x3f4c4adb, v173
	v_mul_f32_e32 v175, 0xbf7ba420, v121
	v_add_f32_e32 v35, v51, v35
	v_add_f32_e32 v34, v48, v34
	;; [unrolled: 1-line block ×3, first 2 shown]
	v_mul_f32_e32 v137, 0x3f3d2fb0, v117
	v_add_f32_e32 v75, v77, v75
	v_fmamk_f32 v77, v104, 0x3ee437d1, v174
	v_mul_f32_e32 v176, 0xbf06c442, v114
	v_add_f32_e32 v142, v147, v142
	v_fmamk_f32 v147, v93, 0xbe3c28d5, v175
	v_mul_f32_e32 v177, 0xbe8c1d8e, v118
	v_add_f32_e32 v35, v41, v35
	v_add_f32_e32 v34, v50, v34
	v_fmamk_f32 v78, v99, 0xbf2c7751, v137
	v_add_f32_e32 v75, v77, v75
	v_fmamk_f32 v77, v105, 0xbf59a7d5, v176
	v_mul_f32_e32 v178, 0x3f4c4adb, v115
	v_add_f32_e32 v142, v147, v142
	v_fmamk_f32 v147, v94, 0xbf763a35, v177
	v_mul_f32_e32 v179, 0x3f3d2fb0, v119
	v_add_f32_e32 v35, v43, v35
	v_add_f32_e32 v34, v40, v34
	;; [unrolled: 1-line block ×3, first 2 shown]
	v_fmamk_f32 v77, v106, 0xbf1a4643, v178
	v_add_f32_e32 v76, v78, v76
	v_add_f32_e32 v78, v147, v142
	v_fmamk_f32 v142, v96, 0xbf2c7751, v179
	v_mul_f32_e32 v154, 0x3f6eb680, v120
	v_mul_f32_e32 v181, 0xbf65296c, v111
	v_add_f32_e32 v35, v53, v35
	v_add_f32_e32 v34, v42, v34
	;; [unrolled: 1-line block ×4, first 2 shown]
	v_fmamk_f32 v78, v97, 0x3eb8f4ab, v154
	v_mul_f32_e32 v182, 0x3dbcf732, v112
	v_fmamk_f32 v147, v100, 0x3ee437d1, v181
	v_mul_f32_e32 v183, 0xbf4c4adb, v108
	v_add_f32_e32 v35, v55, v35
	v_add_f32_e32 v34, v52, v34
	;; [unrolled: 1-line block ×3, first 2 shown]
	v_fmamk_f32 v78, v92, 0x3f7ee86f, v182
	v_add_f32_e32 v147, v32, v147
	v_fmamk_f32 v149, v101, 0xbf1a4643, v183
	v_mul_f32_e32 v184, 0x3e3c28d5, v109
	v_add_f32_e32 v35, v45, v35
	v_add_f32_e32 v34, v54, v34
	;; [unrolled: 1-line block ×3, first 2 shown]
	v_mul_f32_e32 v185, 0x3f3d2fb0, v123
	v_add_f32_e32 v78, v149, v147
	v_fmamk_f32 v147, v102, 0xbf7ba420, v184
	v_mul_f32_e32 v186, 0x3f763a35, v110
	v_add_f32_e32 v47, v47, v35
	v_add_f32_e32 v34, v44, v34
	v_mul_f32_e32 v180, 0x3f2c7751, v116
	v_fmamk_f32 v187, v98, 0x3f2c7751, v185
	v_mul_f32_e32 v188, 0x3dbcf732, v122
	v_add_f32_e32 v78, v147, v78
	v_fmamk_f32 v147, v103, 0xbe8c1d8e, v186
	v_mul_f32_e32 v189, 0x3f2c7751, v113
	v_add_f32_e32 v37, v37, v47
	v_add_f32_e32 v34, v46, v34
	v_fmac_f32_e32 v138, 0xbf4c4adb, v98
	v_fmamk_f32 v142, v107, 0x3f3d2fb0, v180
	v_add_f32_e32 v187, v33, v187
	v_fmamk_f32 v190, v95, 0x3f7ee86f, v188
	v_mul_f32_e32 v191, 0xbf1a4643, v121
	v_add_f32_e32 v78, v147, v78
	v_fmamk_f32 v147, v104, 0x3f3d2fb0, v189
	v_mul_f32_e32 v192, 0xbeb8f4ab, v114
	v_add_f32_e32 v37, v39, v37
	v_add_f32_e32 v34, v36, v34
	;; [unrolled: 1-line block ×3, first 2 shown]
	v_fmac_f32_e32 v139, 0x3f763a35, v95
	v_add_f32_e32 v75, v142, v75
	v_mul_f32_e32 v142, 0xbf59a7d5, v117
	v_add_f32_e32 v187, v190, v187
	v_fmamk_f32 v190, v93, 0x3f4c4adb, v191
	v_mul_f32_e32 v193, 0xbf7ba420, v118
	v_add_f32_e32 v78, v147, v78
	v_fmamk_f32 v147, v105, 0x3f6eb680, v192
	v_mul_f32_e32 v194, 0xbf7ee86f, v115
	v_add_f32_e32 v5, v5, v37
	v_add_f32_e32 v37, v38, v34
	;; [unrolled: 1-line block ×3, first 2 shown]
	v_fmac_f32_e32 v125, 0xbeb8f4ab, v93
	v_fmamk_f32 v149, v99, 0x3f06c442, v142
	v_add_f32_e32 v187, v190, v187
	v_fmamk_f32 v190, v94, 0x3e3c28d5, v193
	v_mul_f32_e32 v195, 0xbf59a7d5, v119
	v_add_f32_e32 v147, v147, v78
	v_fmamk_f32 v196, v106, 0x3dbcf732, v194
	v_fma_f32 v38, 0xbf1a4643, v100, -v143
	v_add_f32_e32 v5, v7, v5
	v_add_f32_e32 v4, v4, v37
	;; [unrolled: 1-line block ×3, first 2 shown]
	v_fmac_f32_e32 v126, 0xbf06c442, v94
	v_add_f32_e32 v78, v149, v77
	v_add_f32_e32 v77, v190, v187
	v_fmamk_f32 v187, v96, 0xbf06c442, v195
	v_mul_f32_e32 v149, 0xbe8c1d8e, v120
	v_add_f32_e32 v190, v196, v147
	v_mul_f32_e32 v196, 0xbf2c7751, v111
	v_mul_f32_e32 v197, 0xbf06c442, v116
	v_add_f32_e32 v36, v32, v38
	v_fma_f32 v37, 0xbe8c1d8e, v101, -v144
	v_add_f32_e32 v1, v1, v5
	v_add_f32_e32 v4, v6, v4
	;; [unrolled: 1-line block ×3, first 2 shown]
	v_fmac_f32_e32 v130, 0x3f7ee86f, v96
	v_add_f32_e32 v77, v187, v77
	v_fmamk_f32 v187, v97, 0xbf763a35, v149
	v_fmamk_f32 v198, v100, 0x3f3d2fb0, v196
	v_mul_f32_e32 v199, 0xbf7ee86f, v108
	v_fmamk_f32 v200, v107, 0xbf59a7d5, v197
	v_add_f32_e32 v6, v37, v36
	v_fma_f32 v7, 0x3f6eb680, v102, -v146
	v_add_f32_e32 v1, v3, v1
	v_add_f32_e32 v0, v0, v4
	v_add_f32_e32 v3, v130, v5
	v_fmac_f32_e32 v131, 0xbf2c7751, v97
	v_mul_f32_e32 v147, 0x3ee437d1, v112
	v_add_f32_e32 v187, v187, v77
	v_add_f32_e32 v198, v32, v198
	v_fmamk_f32 v202, v101, 0x3dbcf732, v199
	v_add_f32_e32 v77, v200, v190
	v_mul_f32_e32 v190, 0x3f6eb680, v123
	v_add_f32_e32 v4, v7, v6
	v_fma_f32 v5, 0xbf59a7d5, v103, -v157
	v_add_f32_e32 v0, v2, v0
	v_add_f32_e32 v2, v131, v3
	v_fmac_f32_e32 v132, 0xbe3c28d5, v92
	v_fmamk_f32 v201, v92, 0xbf65296c, v147
	v_mul_f32_e32 v203, 0xbf4c4adb, v109
	v_add_f32_e32 v198, v202, v198
	v_fmamk_f32 v202, v98, 0x3eb8f4ab, v190
	v_mul_f32_e32 v122, 0x3f3d2fb0, v122
	v_add_f32_e32 v3, v5, v4
	v_fma_f32 v4, 0x3dbcf732, v104, -v158
	v_fmac_f32_e32 v141, 0xbf763a35, v98
	v_add_f32_e32 v2, v132, v2
	v_fmac_f32_e32 v134, 0x3f65296c, v99
	v_add_f32_e32 v187, v201, v187
	v_fmamk_f32 v200, v102, 0xbf1a4643, v203
	v_mul_f32_e32 v201, 0xbe3c28d5, v110
	v_add_f32_e32 v202, v33, v202
	v_fmamk_f32 v205, v95, 0x3f2c7751, v122
	v_mul_f32_e32 v121, 0x3ee437d1, v121
	v_add_f32_e32 v4, v4, v3
	v_fma_f32 v5, 0x3f3d2fb0, v105, -v155
	v_add_f32_e32 v6, v33, v141
	v_fmac_f32_e32 v135, 0x3f06c442, v95
	v_add_f32_e32 v3, v134, v2
	v_fma_f32 v2, 0xbe8c1d8e, v100, -v159
	v_add_f32_e32 v198, v200, v198
	v_fmamk_f32 v200, v103, 0xbf7ba420, v201
	v_mul_f32_e32 v204, 0x3f06c442, v113
	v_add_f32_e32 v202, v205, v202
	v_fmamk_f32 v205, v93, 0x3f65296c, v121
	v_mul_f32_e32 v207, 0x3dbcf732, v118
	v_mul_f32_e32 v111, 0xbeb8f4ab, v111
	v_add_f32_e32 v4, v5, v4
	v_fma_f32 v5, 0xbf7ba420, v106, -v140
	v_add_f32_e32 v6, v135, v6
	v_fmac_f32_e32 v136, 0x3f2c7751, v93
	v_add_f32_e32 v2, v32, v2
	v_fma_f32 v7, 0xbf59a7d5, v101, -v160
	v_add_f32_e32 v198, v200, v198
	v_fmamk_f32 v200, v104, 0xbf59a7d5, v204
	v_mul_f32_e32 v206, 0x3f763a35, v114
	v_add_f32_e32 v202, v205, v202
	v_fmamk_f32 v205, v94, 0x3f7ee86f, v207
	v_mul_f32_e32 v208, 0xbe8c1d8e, v119
	v_fmamk_f32 v49, v100, 0x3f6eb680, v111
	v_mul_f32_e32 v108, 0xbf2c7751, v108
	v_add_f32_e32 v4, v5, v4
	v_fma_f32 v5, 0x3ee437d1, v107, -v145
	v_add_f32_e32 v6, v136, v6
	v_fmac_f32_e32 v127, 0xbf65296c, v94
	v_add_f32_e32 v7, v7, v2
	v_fma_f32 v36, 0x3f3d2fb0, v102, -v161
	v_fmac_f32_e32 v162, 0xbf7ee86f, v98
	v_mul_f32_e32 v123, 0x3f6eb680, v117
	v_add_f32_e32 v118, v200, v198
	v_fmamk_f32 v198, v105, 0xbe8c1d8e, v206
	v_mul_f32_e32 v200, 0x3f65296c, v115
	v_add_f32_e32 v202, v205, v202
	v_fmamk_f32 v205, v96, 0x3f763a35, v208
	;; [unrolled: 3-line block ×3, first 2 shown]
	v_mul_f32_e32 v51, 0xbf65296c, v109
	v_add_f32_e32 v2, v5, v4
	v_add_f32_e32 v4, v127, v6
	v_fmac_f32_e32 v128, 0xbe3c28d5, v96
	v_add_f32_e32 v5, v36, v7
	v_add_f32_e32 v7, v33, v162
	v_fmac_f32_e32 v164, 0xbe3c28d5, v95
	v_add_f32_e32 v118, v198, v118
	v_fmamk_f32 v119, v106, 0x3ee437d1, v200
	v_fmamk_f32 v209, v99, 0xbeb8f4ab, v123
	v_add_f32_e32 v202, v205, v202
	v_fmamk_f32 v205, v97, 0x3f4c4adb, v120
	v_mul_f32_e32 v112, 0xbf59a7d5, v112
	v_add_f32_e32 v48, v49, v48
	v_fmamk_f32 v49, v102, 0x3ee437d1, v51
	v_mul_f32_e32 v40, 0xbf7ee86f, v110
	v_fma_f32 v6, 0x3ee437d1, v103, -v163
	v_add_f32_e32 v4, v128, v4
	v_fmac_f32_e32 v129, 0x3f7ee86f, v97
	v_add_f32_e32 v7, v164, v7
	v_fmac_f32_e32 v166, 0x3f763a35, v93
	v_add_f32_e32 v118, v119, v118
	v_add_f32_e32 v119, v209, v187
	;; [unrolled: 1-line block ×3, first 2 shown]
	v_fmamk_f32 v41, v92, 0x3f06c442, v112
	v_add_f32_e32 v43, v49, v48
	v_fmamk_f32 v42, v103, 0x3dbcf732, v40
	v_mul_f32_e32 v48, 0xbf763a35, v113
	v_mul_f32_e32 v49, 0xbf7ba420, v117
	v_add_f32_e32 v5, v6, v5
	v_fma_f32 v6, 0xbf7ba420, v104, -v165
	v_add_f32_e32 v4, v129, v4
	v_fmac_f32_e32 v133, 0xbeb8f4ab, v92
	v_add_f32_e32 v7, v166, v7
	v_fmac_f32_e32 v150, 0x3eb8f4ab, v94
	v_fma_f32 v36, 0x3dbcf732, v100, -v168
	v_add_f32_e32 v41, v41, v187
	v_add_f32_e32 v42, v42, v43
	v_fmamk_f32 v43, v104, 0xbe8c1d8e, v48
	v_mul_f32_e32 v50, 0xbf4c4adb, v114
	v_fmamk_f32 v45, v99, 0x3e3c28d5, v49
	v_add_f32_e32 v5, v6, v5
	v_fma_f32 v6, 0x3dbcf732, v105, -v167
	v_add_f32_e32 v4, v133, v4
	v_fmac_f32_e32 v124, 0xbf4c4adb, v99
	v_add_f32_e32 v7, v150, v7
	v_fmac_f32_e32 v152, 0xbf65296c, v96
	v_add_f32_e32 v36, v32, v36
	v_fma_f32 v38, 0xbf7ba420, v101, -v169
	v_add_f32_e32 v42, v43, v42
	v_fmamk_f32 v43, v105, 0xbf1a4643, v50
	v_add_f32_e32 v35, v45, v41
	v_mul_f32_e32 v41, 0xbf06c442, v115
	v_add_f32_e32 v6, v6, v5
	v_fma_f32 v37, 0x3f6eb680, v106, -v151
	v_add_f32_e32 v5, v124, v4
	v_add_f32_e32 v4, v152, v7
	v_fmac_f32_e32 v153, 0xbf06c442, v97
	v_add_f32_e32 v7, v38, v36
	v_fma_f32 v36, 0xbe8c1d8e, v102, -v170
	v_add_f32_e32 v42, v43, v42
	v_fmamk_f32 v43, v106, 0xbf59a7d5, v41
	v_mul_f32_e32 v44, 0xbe3c28d5, v116
	v_add_f32_e32 v6, v37, v6
	v_fma_f32 v37, 0xbf1a4643, v107, -v156
	v_add_f32_e32 v38, v153, v4
	v_fmac_f32_e32 v148, 0x3f4c4adb, v92
	v_add_f32_e32 v7, v36, v7
	v_fma_f32 v36, 0x3f6eb680, v103, -v172
	v_add_f32_e32 v39, v43, v42
	v_fmamk_f32 v42, v107, 0xbf7ba420, v44
	v_add_f32_e32 v4, v37, v6
	v_add_f32_e32 v6, v148, v38
	;; [unrolled: 1-line block ×3, first 2 shown]
	v_fma_f32 v36, 0x3ee437d1, v104, -v174
	v_fma_f32 v38, 0x3ee437d1, v100, -v181
	v_add_f32_e32 v34, v42, v39
	v_fma_f32 v39, 0xbf1a4643, v101, -v183
	v_fmac_f32_e32 v137, 0x3f2c7751, v99
	v_add_f32_e32 v7, v36, v7
	v_fma_f32 v36, 0xbf59a7d5, v105, -v176
	v_add_f32_e32 v38, v32, v38
	v_fma_f32 v42, 0xbf1a4643, v106, -v178
	v_fmac_f32_e32 v185, 0xbf2c7751, v98
	v_fmac_f32_e32 v188, 0xbf7ee86f, v95
	v_add_f32_e32 v36, v36, v7
	v_add_f32_e32 v38, v39, v38
	v_fma_f32 v39, 0xbf7ba420, v102, -v184
	v_add_f32_e32 v7, v137, v6
	v_fma_f32 v43, 0xbf59a7d5, v107, -v197
	v_add_f32_e32 v6, v42, v36
	v_add_f32_e32 v42, v33, v185
	;; [unrolled: 1-line block ×3, first 2 shown]
	v_fma_f32 v38, 0xbe8c1d8e, v103, -v186
	v_fma_f32 v39, 0x3f3d2fb0, v107, -v180
	v_fmac_f32_e32 v171, 0xbf65296c, v98
	v_fmac_f32_e32 v190, 0xbeb8f4ab, v98
	;; [unrolled: 1-line block ×3, first 2 shown]
	v_add_f32_e32 v36, v38, v36
	v_fma_f32 v38, 0x3f3d2fb0, v104, -v189
	v_add_f32_e32 v6, v39, v6
	v_add_f32_e32 v39, v188, v42
	v_fma_f32 v42, 0x3f3d2fb0, v100, -v196
	v_add_f32_e32 v37, v33, v171
	;; [unrolled: 3-line block ×3, first 2 shown]
	v_fmac_f32_e32 v122, 0xbf2c7751, v95
	v_add_f32_e32 v37, v173, v37
	v_fmac_f32_e32 v175, 0x3e3c28d5, v93
	v_add_f32_e32 v36, v38, v36
	v_fma_f32 v38, 0x3dbcf732, v106, -v194
	v_fmac_f32_e32 v191, 0xbf4c4adb, v93
	v_add_f32_e32 v33, v122, v33
	v_fmac_f32_e32 v121, 0xbf65296c, v93
	v_add_f32_e32 v37, v175, v37
	v_add_f32_e32 v36, v38, v36
	;; [unrolled: 1-line block ×3, first 2 shown]
	v_fma_f32 v42, 0x3dbcf732, v101, -v199
	v_fmac_f32_e32 v177, 0x3f763a35, v94
	v_add_f32_e32 v39, v191, v39
	v_add_f32_e32 v36, v43, v36
	v_fma_f32 v43, 0x3f6eb680, v100, -v111
	v_add_f32_e32 v38, v42, v38
	v_fma_f32 v42, 0xbf1a4643, v102, -v203
	v_fmac_f32_e32 v193, 0xbe3c28d5, v94
	v_add_f32_e32 v33, v121, v33
	v_add_f32_e32 v32, v32, v43
	v_fma_f32 v43, 0xbf59a7d5, v104, -v204
	v_add_f32_e32 v38, v42, v38
	v_fma_f32 v42, 0xbf7ba420, v103, -v201
	v_fmac_f32_e32 v207, 0xbf7ee86f, v94
	v_fma_f32 v40, 0x3dbcf732, v103, -v40
	v_add_f32_e32 v37, v177, v37
	v_fmac_f32_e32 v179, 0x3f2c7751, v96
	v_add_f32_e32 v38, v42, v38
	v_fma_f32 v42, 0x3f3d2fb0, v101, -v108
	v_add_f32_e32 v39, v193, v39
	v_fmac_f32_e32 v195, 0x3f06c442, v96
	v_add_f32_e32 v33, v207, v33
	v_add_f32_e32 v38, v43, v38
	;; [unrolled: 1-line block ×3, first 2 shown]
	v_fma_f32 v42, 0x3ee437d1, v102, -v51
	v_fma_f32 v43, 0xbe8c1d8e, v105, -v206
	v_fmac_f32_e32 v208, 0xbf763a35, v96
	v_add_f32_e32 v37, v179, v37
	v_fmac_f32_e32 v154, 0xbeb8f4ab, v97
	v_add_f32_e32 v32, v42, v32
	v_add_f32_e32 v38, v43, v38
	v_fma_f32 v42, 0x3ee437d1, v106, -v200
	v_add_f32_e32 v39, v195, v39
	v_fmac_f32_e32 v149, 0x3f763a35, v97
	v_add_f32_e32 v32, v40, v32
	v_fma_f32 v40, 0xbe8c1d8e, v104, -v48
	v_add_f32_e32 v33, v208, v33
	v_fmac_f32_e32 v120, 0xbf4c4adb, v97
	v_add_f32_e32 v38, v42, v38
	v_mul_lo_u16 v42, v85, 17
	v_add_f32_e32 v32, v40, v32
	v_fma_f32 v40, 0xbf1a4643, v105, -v50
	v_mul_f32_e32 v198, 0x3eb8f4ab, v116
	v_add_f32_e32 v37, v154, v37
	v_fmac_f32_e32 v182, 0xbf7ee86f, v92
	v_add_f32_e32 v39, v149, v39
	v_fmac_f32_e32 v147, 0x3f65296c, v92
	v_add_f32_e32 v33, v120, v33
	v_fmac_f32_e32 v112, 0xbf06c442, v92
	v_add_f32_e32 v32, v40, v32
	v_fma_f32 v40, 0xbf59a7d5, v106, -v41
	v_and_b32_e32 v42, 0xffff, v42
	v_fmamk_f32 v210, v107, 0x3f6eb680, v198
	v_add_f32_e32 v1, v58, v1
	v_add_f32_e32 v0, v57, v0
	;; [unrolled: 1-line block ×3, first 2 shown]
	v_fmac_f32_e32 v142, 0xbf06c442, v99
	v_add_f32_e32 v39, v147, v39
	v_fmac_f32_e32 v123, 0x3eb8f4ab, v99
	v_fma_f32 v41, 0x3f6eb680, v107, -v198
	v_add_f32_e32 v43, v112, v33
	v_fmac_f32_e32 v49, 0xbe3c28d5, v99
	v_add_f32_e32 v40, v40, v32
	v_fma_f32 v44, 0xbf7ba420, v107, -v44
	v_lshl_add_u32 v42, v42, 3, v86
	v_add_f32_e32 v118, v210, v118
	v_add_f32_e32 v37, v142, v37
	;; [unrolled: 1-line block ×6, first 2 shown]
	ds_write2_b64 v42, v[0:1], v[34:35] offset1:1
	ds_write2_b64 v42, v[118:119], v[77:78] offset0:2 offset1:3
	ds_write2_b64 v42, v[75:76], v[73:74] offset0:4 offset1:5
	;; [unrolled: 1-line block ×7, first 2 shown]
	ds_write_b64 v42, v[38:39] offset:128
.LBB0_13:
	s_or_b32 exec_lo, exec_lo, s0
	s_waitcnt lgkmcnt(0)
	s_barrier
	buffer_gl0_inv
	ds_read2_b64 v[0:3], v87 offset0:34 offset1:51
	ds_read2_b64 v[4:7], v87 offset0:102 offset1:119
	;; [unrolled: 1-line block ×5, first 2 shown]
	ds_read2_b64 v[44:47], v87 offset1:17
	s_waitcnt lgkmcnt(0)
	s_barrier
	buffer_gl0_inv
	v_mul_f32_e32 v48, v9, v3
	v_mul_f32_e32 v49, v9, v2
	;; [unrolled: 1-line block ×10, first 2 shown]
	v_fmac_f32_e32 v48, v8, v2
	v_fma_f32 v2, v8, v3, -v49
	v_fmac_f32_e32 v50, v10, v4
	v_fma_f32 v3, v10, v5, -v51
	;; [unrolled: 2-line block ×4, first 2 shown]
	v_mul_f32_e32 v34, v13, v39
	v_mul_f32_e32 v8, v13, v38
	;; [unrolled: 1-line block ×5, first 2 shown]
	v_fmac_f32_e32 v55, v10, v6
	v_fma_f32 v6, v10, v7, -v11
	v_mul_f32_e32 v7, v60, v40
	v_fma_f32 v15, v12, v39, -v8
	v_fmac_f32_e32 v13, v14, v32
	v_fma_f32 v14, v14, v33, -v9
	v_sub_f32_e32 v9, v44, v50
	v_sub_f32_e32 v8, v48, v52
	;; [unrolled: 1-line block ×4, first 2 shown]
	v_fmac_f32_e32 v57, v59, v40
	v_fma_f32 v7, v59, v41, -v7
	v_fma_f32 v4, v44, 2.0, -v9
	v_fma_f32 v3, v48, 2.0, -v8
	;; [unrolled: 1-line block ×4, first 2 shown]
	v_fmac_f32_e32 v34, v12, v38
	v_mul_f32_e32 v32, v62, v43
	v_mul_f32_e32 v12, v62, v42
	v_sub_f32_e32 v2, v4, v3
	v_sub_f32_e32 v37, v46, v55
	v_sub_f32_e32 v3, v33, v35
	v_sub_f32_e32 v35, v54, v57
	v_sub_f32_e32 v38, v47, v6
	v_sub_f32_e32 v39, v5, v7
	v_fmac_f32_e32 v32, v61, v42
	v_fma_f32 v36, v61, v43, -v12
	v_fma_f32 v12, v46, 2.0, -v37
	v_fma_f32 v40, v54, 2.0, -v35
	v_add_f32_e32 v6, v9, v10
	v_fma_f32 v41, v47, 2.0, -v38
	v_fma_f32 v42, v5, 2.0, -v39
	v_sub_f32_e32 v7, v11, v8
	v_sub_f32_e32 v8, v12, v40
	v_fma_f32 v10, v9, 2.0, -v6
	v_sub_f32_e32 v40, v0, v13
	v_sub_f32_e32 v9, v41, v42
	v_sub_f32_e32 v42, v1, v14
	v_sub_f32_e32 v43, v34, v32
	v_sub_f32_e32 v36, v15, v36
	v_fma_f32 v5, v33, 2.0, -v3
	v_add_f32_e32 v14, v37, v39
	v_fma_f32 v39, v0, 2.0, -v40
	v_fma_f32 v44, v1, 2.0, -v42
	;; [unrolled: 1-line block ×4, first 2 shown]
	v_sub_f32_e32 v15, v38, v35
	v_add_f32_e32 v34, v40, v36
	v_sub_f32_e32 v35, v42, v43
	v_sub_f32_e32 v32, v39, v1
	;; [unrolled: 1-line block ×3, first 2 shown]
	v_fma_f32 v4, v4, 2.0, -v2
	v_fma_f32 v11, v11, 2.0, -v7
	;; [unrolled: 1-line block ×10, first 2 shown]
	ds_write2_b64 v87, v[4:5], v[10:11] offset1:17
	ds_write2_b64 v87, v[2:3], v[6:7] offset0:34 offset1:51
	ds_write2_b64 v87, v[12:13], v[0:1] offset0:68 offset1:85
	ds_write2_b64 v87, v[8:9], v[14:15] offset0:102 offset1:119
	ds_write2_b64 v89, v[36:37], v[38:39] offset0:136 offset1:153
	ds_write2_b64 v89, v[32:33], v[34:35] offset0:170 offset1:187
	s_waitcnt lgkmcnt(0)
	s_barrier
	buffer_gl0_inv
	ds_read2_b64 v[0:3], v87 offset0:68 offset1:85
	ds_read2_b64 v[4:7], v87 offset0:136 offset1:153
	;; [unrolled: 1-line block ×4, first 2 shown]
	ds_read2_b64 v[32:35], v87 offset1:17
	ds_read2_b64 v[36:39], v87 offset0:34 offset1:51
	s_waitcnt lgkmcnt(5)
	v_mul_f32_e32 v40, v29, v1
	v_mul_f32_e32 v29, v29, v0
	s_waitcnt lgkmcnt(4)
	v_mul_f32_e32 v41, v31, v5
	v_fmac_f32_e32 v40, v28, v0
	v_mul_f32_e32 v0, v31, v4
	v_fma_f32 v1, v28, v1, -v29
	v_mul_f32_e32 v28, v25, v3
	v_fmac_f32_e32 v41, v30, v4
	v_mul_f32_e32 v4, v25, v2
	v_fma_f32 v5, v30, v5, -v0
	v_mul_f32_e32 v25, v27, v7
	v_fmac_f32_e32 v28, v24, v2
	v_mul_f32_e32 v0, v27, v6
	s_waitcnt lgkmcnt(3)
	v_mul_f32_e32 v27, v21, v9
	v_mul_f32_e32 v2, v21, v8
	s_waitcnt lgkmcnt(2)
	v_mul_f32_e32 v21, v23, v13
	v_fma_f32 v24, v24, v3, -v4
	v_fma_f32 v7, v26, v7, -v0
	v_fmac_f32_e32 v27, v20, v8
	v_mul_f32_e32 v0, v23, v12
	v_fma_f32 v20, v20, v9, -v2
	v_mul_f32_e32 v23, v17, v11
	v_mul_f32_e32 v2, v17, v10
	s_waitcnt lgkmcnt(1)
	v_add_f32_e32 v3, v32, v40
	v_fma_f32 v13, v22, v13, -v0
	v_mul_f32_e32 v0, v19, v14
	v_fmac_f32_e32 v23, v16, v10
	v_fma_f32 v16, v16, v11, -v2
	v_add_f32_e32 v2, v40, v41
	v_add_f32_e32 v4, v1, v5
	v_fmac_f32_e32 v25, v26, v6
	v_mul_f32_e32 v17, v19, v15
	v_fma_f32 v19, v18, v15, -v0
	v_fma_f32 v0, -0.5, v2, v32
	v_sub_f32_e32 v6, v1, v5
	v_add_f32_e32 v2, v3, v41
	v_add_f32_e32 v3, v33, v1
	v_fma_f32 v1, -0.5, v4, v33
	v_sub_f32_e32 v8, v40, v41
	v_fmamk_f32 v4, v6, 0xbf5db3d7, v0
	v_fmac_f32_e32 v0, 0x3f5db3d7, v6
	v_add_f32_e32 v3, v3, v5
	v_add_f32_e32 v6, v28, v25
	v_fmamk_f32 v5, v8, 0x3f5db3d7, v1
	v_add_f32_e32 v9, v34, v28
	v_fmac_f32_e32 v1, 0xbf5db3d7, v8
	v_add_f32_e32 v8, v24, v7
	v_fmac_f32_e32 v21, v22, v12
	v_fma_f32 v34, -0.5, v6, v34
	v_sub_f32_e32 v10, v24, v7
	v_add_f32_e32 v6, v9, v25
	v_add_f32_e32 v9, v35, v24
	v_fmac_f32_e32 v35, -0.5, v8
	v_sub_f32_e32 v11, v28, v25
	v_fmamk_f32 v8, v10, 0xbf5db3d7, v34
	v_fmac_f32_e32 v34, 0x3f5db3d7, v10
	v_add_f32_e32 v7, v9, v7
	v_add_f32_e32 v10, v27, v21
	v_fmamk_f32 v9, v11, 0x3f5db3d7, v35
	v_fmac_f32_e32 v35, 0xbf5db3d7, v11
	v_add_f32_e32 v11, v20, v13
	v_fmac_f32_e32 v17, v18, v14
	s_waitcnt lgkmcnt(0)
	v_fma_f32 v10, -0.5, v10, v36
	v_sub_f32_e32 v15, v20, v13
	v_add_f32_e32 v18, v37, v20
	v_fma_f32 v11, -0.5, v11, v37
	v_sub_f32_e32 v20, v27, v21
	v_add_f32_e32 v12, v36, v27
	v_fmamk_f32 v14, v15, 0xbf5db3d7, v10
	v_fmac_f32_e32 v10, 0x3f5db3d7, v15
	v_add_f32_e32 v13, v18, v13
	v_add_f32_e32 v18, v23, v17
	v_fmamk_f32 v15, v20, 0x3f5db3d7, v11
	v_fmac_f32_e32 v11, 0xbf5db3d7, v20
	v_add_f32_e32 v20, v16, v19
	v_add_f32_e32 v12, v12, v21
	;; [unrolled: 1-line block ×3, first 2 shown]
	v_fma_f32 v38, -0.5, v18, v38
	v_sub_f32_e32 v22, v16, v19
	v_add_f32_e32 v24, v39, v16
	v_fmac_f32_e32 v39, -0.5, v20
	v_sub_f32_e32 v20, v23, v17
	v_add_f32_e32 v16, v21, v17
	v_fmamk_f32 v18, v22, 0xbf5db3d7, v38
	v_fmac_f32_e32 v38, 0x3f5db3d7, v22
	v_add_f32_e32 v17, v24, v19
	v_fmamk_f32 v19, v20, 0x3f5db3d7, v39
	v_fmac_f32_e32 v39, 0xbf5db3d7, v20
	ds_write2_b64 v88, v[2:3], v[6:7] offset1:17
	ds_write2_b64 v88, v[4:5], v[8:9] offset0:68 offset1:85
	ds_write2_b64 v88, v[0:1], v[34:35] offset0:136 offset1:153
	ds_write_b64 v88, v[12:13] offset:272
	ds_write2_b64 v91, v[14:15], v[10:11] offset0:68 offset1:136
	ds_write_b64 v88, v[16:17] offset:408
	ds_write2_b64 v90, v[18:19], v[38:39] offset0:68 offset1:136
	s_waitcnt lgkmcnt(0)
	s_barrier
	buffer_gl0_inv
	s_and_b32 exec_lo, exec_lo, vcc_lo
	s_cbranch_execz .LBB0_15
; %bb.14:
	global_load_dwordx2 v[0:1], v80, s[12:13]
	ds_read_b64 v[2:3], v88
	s_mov_b32 s0, 0x14141414
	s_mov_b32 s1, 0x3f741414
	v_mad_u64_u32 v[6:7], null, s4, v85, 0
	v_lshl_add_u32 v11, v84, 3, v80
	s_mul_i32 s2, s5, 0x60
	s_mul_i32 s3, s4, 0x60
	s_mul_hi_u32 s8, s4, 0xc0
	s_waitcnt vmcnt(0) lgkmcnt(0)
	v_mul_f32_e32 v4, v3, v1
	v_mul_f32_e32 v1, v2, v1
	v_fmac_f32_e32 v4, v2, v0
	v_fma_f32 v2, v0, v3, -v1
	v_cvt_f64_f32_e32 v[0:1], v4
	v_cvt_f64_f32_e32 v[2:3], v2
	v_mad_u64_u32 v[4:5], null, s6, v56, 0
	s_mul_hi_u32 s6, s4, 0x60
	s_add_i32 s2, s6, s2
	s_mul_i32 s6, s5, 0xc0
	s_add_i32 s6, s8, s6
	v_mad_u64_u32 v[8:9], null, s7, v56, v[5:6]
	s_mul_i32 s7, s4, 0xc0
	v_mad_u64_u32 v[9:10], null, s5, v85, v[7:8]
	v_mov_b32_e32 v5, v8
	v_mul_f64 v[0:1], v[0:1], s[0:1]
	v_mul_f64 v[2:3], v[2:3], s[0:1]
	v_mov_b32_e32 v7, v9
	v_cvt_f32_f64_e32 v0, v[0:1]
	v_cvt_f32_f64_e32 v1, v[2:3]
	v_lshlrev_b64 v[2:3], 3, v[4:5]
	v_lshlrev_b64 v[4:5], 3, v[6:7]
	v_add_co_u32 v9, vcc_lo, s14, v2
	v_add_co_ci_u32_e32 v10, vcc_lo, s15, v3, vcc_lo
	v_add_co_u32 v4, vcc_lo, v9, v4
	v_add_co_ci_u32_e32 v5, vcc_lo, v10, v5, vcc_lo
	global_store_dwordx2 v[4:5], v[0:1], off
	global_load_dwordx2 v[6:7], v80, s[12:13] offset:96
	ds_read2_b64 v[0:3], v11 offset0:12 offset1:24
	v_add_co_u32 v4, vcc_lo, v4, s3
	v_add_co_ci_u32_e32 v5, vcc_lo, s2, v5, vcc_lo
	s_waitcnt vmcnt(0) lgkmcnt(0)
	v_mul_f32_e32 v8, v1, v7
	v_mul_f32_e32 v7, v0, v7
	v_fmac_f32_e32 v8, v0, v6
	v_fma_f32 v6, v6, v1, -v7
	v_cvt_f64_f32_e32 v[0:1], v8
	v_cvt_f64_f32_e32 v[6:7], v6
	v_mul_f64 v[0:1], v[0:1], s[0:1]
	v_mul_f64 v[6:7], v[6:7], s[0:1]
	v_cvt_f32_f64_e32 v0, v[0:1]
	v_cvt_f32_f64_e32 v1, v[6:7]
	global_store_dwordx2 v[4:5], v[0:1], off
	global_load_dwordx2 v[0:1], v80, s[12:13] offset:192
	v_add_co_u32 v4, vcc_lo, v4, s3
	v_add_co_ci_u32_e32 v5, vcc_lo, s2, v5, vcc_lo
	s_waitcnt vmcnt(0)
	v_mul_f32_e32 v6, v3, v1
	v_mul_f32_e32 v1, v2, v1
	v_fmac_f32_e32 v6, v2, v0
	v_fma_f32 v2, v0, v3, -v1
	v_cvt_f64_f32_e32 v[0:1], v6
	v_cvt_f64_f32_e32 v[2:3], v2
	v_mul_f64 v[0:1], v[0:1], s[0:1]
	v_mul_f64 v[2:3], v[2:3], s[0:1]
	v_cvt_f32_f64_e32 v0, v[0:1]
	v_cvt_f32_f64_e32 v1, v[2:3]
	global_store_dwordx2 v[4:5], v[0:1], off
	global_load_dwordx2 v[6:7], v80, s[12:13] offset:288
	ds_read2_b64 v[0:3], v11 offset0:36 offset1:48
	v_add_co_u32 v4, vcc_lo, v4, s3
	v_add_co_ci_u32_e32 v5, vcc_lo, s2, v5, vcc_lo
	s_waitcnt vmcnt(0) lgkmcnt(0)
	v_mul_f32_e32 v8, v1, v7
	v_mul_f32_e32 v7, v0, v7
	v_fmac_f32_e32 v8, v0, v6
	v_fma_f32 v6, v6, v1, -v7
	v_cvt_f64_f32_e32 v[0:1], v8
	v_cvt_f64_f32_e32 v[6:7], v6
	v_mul_f64 v[0:1], v[0:1], s[0:1]
	v_mul_f64 v[6:7], v[6:7], s[0:1]
	v_cvt_f32_f64_e32 v0, v[0:1]
	v_cvt_f32_f64_e32 v1, v[6:7]
	global_store_dwordx2 v[4:5], v[0:1], off
	global_load_dwordx2 v[0:1], v80, s[12:13] offset:384
	s_waitcnt vmcnt(0)
	v_mul_f32_e32 v6, v3, v1
	v_mul_f32_e32 v1, v2, v1
	v_fmac_f32_e32 v6, v2, v0
	v_fma_f32 v2, v0, v3, -v1
	v_cvt_f64_f32_e32 v[0:1], v6
	v_cvt_f64_f32_e32 v[2:3], v2
	v_mad_u64_u32 v[6:7], null, s4, v83, 0
	v_mad_u64_u32 v[7:8], null, s5, v83, v[7:8]
	v_mul_f64 v[0:1], v[0:1], s[0:1]
	v_mul_f64 v[2:3], v[2:3], s[0:1]
	v_cvt_f32_f64_e32 v0, v[0:1]
	v_cvt_f32_f64_e32 v1, v[2:3]
	v_lshlrev_b64 v[2:3], 3, v[6:7]
	v_add_co_u32 v2, vcc_lo, v9, v2
	v_add_co_ci_u32_e32 v3, vcc_lo, v10, v3, vcc_lo
	v_add_co_u32 v4, vcc_lo, v4, s7
	v_add_co_ci_u32_e32 v5, vcc_lo, s6, v5, vcc_lo
	global_store_dwordx2 v[2:3], v[0:1], off
	global_load_dwordx2 v[6:7], v80, s[12:13] offset:480
	ds_read2_b64 v[0:3], v11 offset0:60 offset1:72
	s_waitcnt vmcnt(0) lgkmcnt(0)
	v_mul_f32_e32 v8, v1, v7
	v_mul_f32_e32 v7, v0, v7
	v_fmac_f32_e32 v8, v0, v6
	v_fma_f32 v6, v6, v1, -v7
	v_cvt_f64_f32_e32 v[0:1], v8
	v_cvt_f64_f32_e32 v[6:7], v6
	v_mul_f64 v[0:1], v[0:1], s[0:1]
	v_mul_f64 v[6:7], v[6:7], s[0:1]
	v_cvt_f32_f64_e32 v0, v[0:1]
	v_cvt_f32_f64_e32 v1, v[6:7]
	global_store_dwordx2 v[4:5], v[0:1], off
	global_load_dwordx2 v[0:1], v80, s[12:13] offset:576
	v_add_co_u32 v4, vcc_lo, v4, s3
	v_add_co_ci_u32_e32 v5, vcc_lo, s2, v5, vcc_lo
	s_waitcnt vmcnt(0)
	v_mul_f32_e32 v6, v3, v1
	v_mul_f32_e32 v1, v2, v1
	v_fmac_f32_e32 v6, v2, v0
	v_fma_f32 v2, v0, v3, -v1
	v_cvt_f64_f32_e32 v[0:1], v6
	v_cvt_f64_f32_e32 v[2:3], v2
	v_mul_f64 v[0:1], v[0:1], s[0:1]
	v_mul_f64 v[2:3], v[2:3], s[0:1]
	v_cvt_f32_f64_e32 v0, v[0:1]
	v_cvt_f32_f64_e32 v1, v[2:3]
	global_store_dwordx2 v[4:5], v[0:1], off
	global_load_dwordx2 v[6:7], v80, s[12:13] offset:672
	ds_read2_b64 v[0:3], v11 offset0:84 offset1:96
	v_add_co_u32 v4, vcc_lo, v4, s3
	v_add_co_ci_u32_e32 v5, vcc_lo, s2, v5, vcc_lo
	s_waitcnt vmcnt(0) lgkmcnt(0)
	v_mul_f32_e32 v8, v1, v7
	v_mul_f32_e32 v7, v0, v7
	v_fmac_f32_e32 v8, v0, v6
	v_fma_f32 v6, v6, v1, -v7
	v_cvt_f64_f32_e32 v[0:1], v8
	v_cvt_f64_f32_e32 v[6:7], v6
	v_mul_f64 v[0:1], v[0:1], s[0:1]
	v_mul_f64 v[6:7], v[6:7], s[0:1]
	v_cvt_f32_f64_e32 v0, v[0:1]
	v_cvt_f32_f64_e32 v1, v[6:7]
	global_store_dwordx2 v[4:5], v[0:1], off
	global_load_dwordx2 v[0:1], v80, s[12:13] offset:768
	s_waitcnt vmcnt(0)
	v_mul_f32_e32 v6, v3, v1
	v_mul_f32_e32 v1, v2, v1
	v_fmac_f32_e32 v6, v2, v0
	v_fma_f32 v2, v0, v3, -v1
	v_cvt_f64_f32_e32 v[0:1], v6
	v_cvt_f64_f32_e32 v[2:3], v2
	v_mad_u64_u32 v[6:7], null, s4, v82, 0
	v_mad_u64_u32 v[7:8], null, s5, v82, v[7:8]
	v_mul_f64 v[0:1], v[0:1], s[0:1]
	v_mul_f64 v[2:3], v[2:3], s[0:1]
	v_cvt_f32_f64_e32 v0, v[0:1]
	v_cvt_f32_f64_e32 v1, v[2:3]
	v_lshlrev_b64 v[2:3], 3, v[6:7]
	v_add_co_u32 v2, vcc_lo, v9, v2
	v_add_co_ci_u32_e32 v3, vcc_lo, v10, v3, vcc_lo
	v_add_co_u32 v4, vcc_lo, v4, s7
	v_add_co_ci_u32_e32 v5, vcc_lo, s6, v5, vcc_lo
	global_store_dwordx2 v[2:3], v[0:1], off
	global_load_dwordx2 v[6:7], v80, s[12:13] offset:864
	ds_read2_b64 v[0:3], v11 offset0:108 offset1:120
	s_waitcnt vmcnt(0) lgkmcnt(0)
	v_mul_f32_e32 v8, v1, v7
	v_mul_f32_e32 v7, v0, v7
	v_fmac_f32_e32 v8, v0, v6
	v_fma_f32 v6, v6, v1, -v7
	v_cvt_f64_f32_e32 v[0:1], v8
	v_cvt_f64_f32_e32 v[6:7], v6
	v_mul_f64 v[0:1], v[0:1], s[0:1]
	v_mul_f64 v[6:7], v[6:7], s[0:1]
	v_cvt_f32_f64_e32 v0, v[0:1]
	v_cvt_f32_f64_e32 v1, v[6:7]
	global_store_dwordx2 v[4:5], v[0:1], off
	global_load_dwordx2 v[0:1], v80, s[12:13] offset:960
	v_add_co_u32 v4, vcc_lo, v4, s3
	v_add_co_ci_u32_e32 v5, vcc_lo, s2, v5, vcc_lo
	s_waitcnt vmcnt(0)
	v_mul_f32_e32 v6, v3, v1
	v_mul_f32_e32 v1, v2, v1
	v_fmac_f32_e32 v6, v2, v0
	v_fma_f32 v2, v0, v3, -v1
	v_cvt_f64_f32_e32 v[0:1], v6
	v_cvt_f64_f32_e32 v[2:3], v2
	v_mul_f64 v[0:1], v[0:1], s[0:1]
	v_mul_f64 v[2:3], v[2:3], s[0:1]
	v_cvt_f32_f64_e32 v0, v[0:1]
	v_cvt_f32_f64_e32 v1, v[2:3]
	global_store_dwordx2 v[4:5], v[0:1], off
	global_load_dwordx2 v[6:7], v80, s[12:13] offset:1056
	ds_read2_b64 v[0:3], v11 offset0:132 offset1:144
	v_add_co_u32 v4, vcc_lo, v4, s3
	v_add_co_ci_u32_e32 v5, vcc_lo, s2, v5, vcc_lo
	s_waitcnt vmcnt(0) lgkmcnt(0)
	v_mul_f32_e32 v8, v1, v7
	v_mul_f32_e32 v7, v0, v7
	v_fmac_f32_e32 v8, v0, v6
	v_fma_f32 v6, v6, v1, -v7
	v_cvt_f64_f32_e32 v[0:1], v8
	v_cvt_f64_f32_e32 v[6:7], v6
	v_mul_f64 v[0:1], v[0:1], s[0:1]
	v_mul_f64 v[6:7], v[6:7], s[0:1]
	v_cvt_f32_f64_e32 v0, v[0:1]
	v_cvt_f32_f64_e32 v1, v[6:7]
	global_store_dwordx2 v[4:5], v[0:1], off
	global_load_dwordx2 v[0:1], v80, s[12:13] offset:1152
	s_waitcnt vmcnt(0)
	v_mul_f32_e32 v6, v3, v1
	v_mul_f32_e32 v1, v2, v1
	v_fmac_f32_e32 v6, v2, v0
	v_fma_f32 v2, v0, v3, -v1
	v_cvt_f64_f32_e32 v[0:1], v6
	v_cvt_f64_f32_e32 v[2:3], v2
	v_mad_u64_u32 v[6:7], null, s4, v81, 0
	v_mad_u64_u32 v[7:8], null, s5, v81, v[7:8]
	v_mul_f64 v[0:1], v[0:1], s[0:1]
	v_mul_f64 v[2:3], v[2:3], s[0:1]
	v_cvt_f32_f64_e32 v0, v[0:1]
	v_cvt_f32_f64_e32 v1, v[2:3]
	v_lshlrev_b64 v[2:3], 3, v[6:7]
	v_add_co_u32 v2, vcc_lo, v9, v2
	v_add_co_ci_u32_e32 v3, vcc_lo, v10, v3, vcc_lo
	v_add_co_u32 v4, vcc_lo, v4, s7
	v_add_co_ci_u32_e32 v5, vcc_lo, s6, v5, vcc_lo
	global_store_dwordx2 v[2:3], v[0:1], off
	global_load_dwordx2 v[6:7], v80, s[12:13] offset:1248
	ds_read2_b64 v[0:3], v11 offset0:156 offset1:168
	s_waitcnt vmcnt(0) lgkmcnt(0)
	v_mul_f32_e32 v8, v1, v7
	v_mul_f32_e32 v7, v0, v7
	v_fmac_f32_e32 v8, v0, v6
	v_fma_f32 v6, v6, v1, -v7
	v_cvt_f64_f32_e32 v[0:1], v8
	v_cvt_f64_f32_e32 v[6:7], v6
	v_mul_f64 v[0:1], v[0:1], s[0:1]
	v_mul_f64 v[6:7], v[6:7], s[0:1]
	v_cvt_f32_f64_e32 v0, v[0:1]
	v_cvt_f32_f64_e32 v1, v[6:7]
	global_store_dwordx2 v[4:5], v[0:1], off
	global_load_dwordx2 v[0:1], v80, s[12:13] offset:1344
	v_add_co_u32 v4, vcc_lo, v4, s3
	v_add_co_ci_u32_e32 v5, vcc_lo, s2, v5, vcc_lo
	s_waitcnt vmcnt(0)
	v_mul_f32_e32 v6, v3, v1
	v_mul_f32_e32 v1, v2, v1
	v_fmac_f32_e32 v6, v2, v0
	v_fma_f32 v2, v0, v3, -v1
	v_cvt_f64_f32_e32 v[0:1], v6
	v_cvt_f64_f32_e32 v[2:3], v2
	v_mul_f64 v[0:1], v[0:1], s[0:1]
	v_mul_f64 v[2:3], v[2:3], s[0:1]
	v_cvt_f32_f64_e32 v0, v[0:1]
	v_cvt_f32_f64_e32 v1, v[2:3]
	global_store_dwordx2 v[4:5], v[0:1], off
	global_load_dwordx2 v[6:7], v80, s[12:13] offset:1440
	ds_read2_b64 v[0:3], v11 offset0:180 offset1:192
	v_add_co_u32 v4, vcc_lo, v4, s3
	v_add_co_ci_u32_e32 v5, vcc_lo, s2, v5, vcc_lo
	s_waitcnt vmcnt(0) lgkmcnt(0)
	v_mul_f32_e32 v8, v1, v7
	v_mul_f32_e32 v7, v0, v7
	v_fmac_f32_e32 v8, v0, v6
	v_fma_f32 v6, v6, v1, -v7
	v_cvt_f64_f32_e32 v[0:1], v8
	v_cvt_f64_f32_e32 v[6:7], v6
	v_mul_f64 v[0:1], v[0:1], s[0:1]
	v_mul_f64 v[6:7], v[6:7], s[0:1]
	v_cvt_f32_f64_e32 v0, v[0:1]
	v_cvt_f32_f64_e32 v1, v[6:7]
	global_store_dwordx2 v[4:5], v[0:1], off
	global_load_dwordx2 v[0:1], v80, s[12:13] offset:1536
	s_waitcnt vmcnt(0)
	v_mul_f32_e32 v4, v3, v1
	v_mul_f32_e32 v1, v2, v1
	v_fmac_f32_e32 v4, v2, v0
	v_fma_f32 v2, v0, v3, -v1
	v_cvt_f64_f32_e32 v[0:1], v4
	v_cvt_f64_f32_e32 v[2:3], v2
	v_mad_u64_u32 v[4:5], null, s4, v79, 0
	v_mad_u64_u32 v[5:6], null, s5, v79, v[5:6]
	v_mul_f64 v[0:1], v[0:1], s[0:1]
	v_mul_f64 v[2:3], v[2:3], s[0:1]
	v_cvt_f32_f64_e32 v0, v[0:1]
	v_cvt_f32_f64_e32 v1, v[2:3]
	v_lshlrev_b64 v[2:3], 3, v[4:5]
	v_add_co_u32 v2, vcc_lo, v9, v2
	v_add_co_ci_u32_e32 v3, vcc_lo, v10, v3, vcc_lo
	global_store_dwordx2 v[2:3], v[0:1], off
.LBB0_15:
	s_endpgm
	.section	.rodata,"a",@progbits
	.p2align	6, 0x0
	.amdhsa_kernel bluestein_single_fwd_len204_dim1_sp_op_CI_CI
		.amdhsa_group_segment_fixed_size 11424
		.amdhsa_private_segment_fixed_size 0
		.amdhsa_kernarg_size 104
		.amdhsa_user_sgpr_count 6
		.amdhsa_user_sgpr_private_segment_buffer 1
		.amdhsa_user_sgpr_dispatch_ptr 0
		.amdhsa_user_sgpr_queue_ptr 0
		.amdhsa_user_sgpr_kernarg_segment_ptr 1
		.amdhsa_user_sgpr_dispatch_id 0
		.amdhsa_user_sgpr_flat_scratch_init 0
		.amdhsa_user_sgpr_private_segment_size 0
		.amdhsa_wavefront_size32 1
		.amdhsa_uses_dynamic_stack 0
		.amdhsa_system_sgpr_private_segment_wavefront_offset 0
		.amdhsa_system_sgpr_workgroup_id_x 1
		.amdhsa_system_sgpr_workgroup_id_y 0
		.amdhsa_system_sgpr_workgroup_id_z 0
		.amdhsa_system_sgpr_workgroup_info 0
		.amdhsa_system_vgpr_workitem_id 0
		.amdhsa_next_free_vgpr 211
		.amdhsa_next_free_sgpr 17
		.amdhsa_reserve_vcc 1
		.amdhsa_reserve_flat_scratch 0
		.amdhsa_float_round_mode_32 0
		.amdhsa_float_round_mode_16_64 0
		.amdhsa_float_denorm_mode_32 3
		.amdhsa_float_denorm_mode_16_64 3
		.amdhsa_dx10_clamp 1
		.amdhsa_ieee_mode 1
		.amdhsa_fp16_overflow 0
		.amdhsa_workgroup_processor_mode 1
		.amdhsa_memory_ordered 1
		.amdhsa_forward_progress 0
		.amdhsa_shared_vgpr_count 0
		.amdhsa_exception_fp_ieee_invalid_op 0
		.amdhsa_exception_fp_denorm_src 0
		.amdhsa_exception_fp_ieee_div_zero 0
		.amdhsa_exception_fp_ieee_overflow 0
		.amdhsa_exception_fp_ieee_underflow 0
		.amdhsa_exception_fp_ieee_inexact 0
		.amdhsa_exception_int_div_zero 0
	.end_amdhsa_kernel
	.text
.Lfunc_end0:
	.size	bluestein_single_fwd_len204_dim1_sp_op_CI_CI, .Lfunc_end0-bluestein_single_fwd_len204_dim1_sp_op_CI_CI
                                        ; -- End function
	.section	.AMDGPU.csdata,"",@progbits
; Kernel info:
; codeLenInByte = 16812
; NumSgprs: 19
; NumVgprs: 211
; ScratchSize: 0
; MemoryBound: 0
; FloatMode: 240
; IeeeMode: 1
; LDSByteSize: 11424 bytes/workgroup (compile time only)
; SGPRBlocks: 2
; VGPRBlocks: 26
; NumSGPRsForWavesPerEU: 19
; NumVGPRsForWavesPerEU: 211
; Occupancy: 4
; WaveLimiterHint : 1
; COMPUTE_PGM_RSRC2:SCRATCH_EN: 0
; COMPUTE_PGM_RSRC2:USER_SGPR: 6
; COMPUTE_PGM_RSRC2:TRAP_HANDLER: 0
; COMPUTE_PGM_RSRC2:TGID_X_EN: 1
; COMPUTE_PGM_RSRC2:TGID_Y_EN: 0
; COMPUTE_PGM_RSRC2:TGID_Z_EN: 0
; COMPUTE_PGM_RSRC2:TIDIG_COMP_CNT: 0
	.text
	.p2alignl 6, 3214868480
	.fill 48, 4, 3214868480
	.type	__hip_cuid_70be3a936f91cfcd,@object ; @__hip_cuid_70be3a936f91cfcd
	.section	.bss,"aw",@nobits
	.globl	__hip_cuid_70be3a936f91cfcd
__hip_cuid_70be3a936f91cfcd:
	.byte	0                               ; 0x0
	.size	__hip_cuid_70be3a936f91cfcd, 1

	.ident	"AMD clang version 19.0.0git (https://github.com/RadeonOpenCompute/llvm-project roc-6.4.0 25133 c7fe45cf4b819c5991fe208aaa96edf142730f1d)"
	.section	".note.GNU-stack","",@progbits
	.addrsig
	.addrsig_sym __hip_cuid_70be3a936f91cfcd
	.amdgpu_metadata
---
amdhsa.kernels:
  - .args:
      - .actual_access:  read_only
        .address_space:  global
        .offset:         0
        .size:           8
        .value_kind:     global_buffer
      - .actual_access:  read_only
        .address_space:  global
        .offset:         8
        .size:           8
        .value_kind:     global_buffer
      - .actual_access:  read_only
        .address_space:  global
        .offset:         16
        .size:           8
        .value_kind:     global_buffer
      - .actual_access:  read_only
        .address_space:  global
        .offset:         24
        .size:           8
        .value_kind:     global_buffer
      - .actual_access:  read_only
        .address_space:  global
        .offset:         32
        .size:           8
        .value_kind:     global_buffer
      - .offset:         40
        .size:           8
        .value_kind:     by_value
      - .address_space:  global
        .offset:         48
        .size:           8
        .value_kind:     global_buffer
      - .address_space:  global
        .offset:         56
        .size:           8
        .value_kind:     global_buffer
      - .address_space:  global
        .offset:         64
        .size:           8
        .value_kind:     global_buffer
      - .address_space:  global
        .offset:         72
        .size:           8
        .value_kind:     global_buffer
      - .offset:         80
        .size:           4
        .value_kind:     by_value
      - .address_space:  global
        .offset:         88
        .size:           8
        .value_kind:     global_buffer
      - .address_space:  global
        .offset:         96
        .size:           8
        .value_kind:     global_buffer
    .group_segment_fixed_size: 11424
    .kernarg_segment_align: 8
    .kernarg_segment_size: 104
    .language:       OpenCL C
    .language_version:
      - 2
      - 0
    .max_flat_workgroup_size: 119
    .name:           bluestein_single_fwd_len204_dim1_sp_op_CI_CI
    .private_segment_fixed_size: 0
    .sgpr_count:     19
    .sgpr_spill_count: 0
    .symbol:         bluestein_single_fwd_len204_dim1_sp_op_CI_CI.kd
    .uniform_work_group_size: 1
    .uses_dynamic_stack: false
    .vgpr_count:     211
    .vgpr_spill_count: 0
    .wavefront_size: 32
    .workgroup_processor_mode: 1
amdhsa.target:   amdgcn-amd-amdhsa--gfx1030
amdhsa.version:
  - 1
  - 2
...

	.end_amdgpu_metadata
